;; amdgpu-corpus repo=ROCm/rocFFT kind=compiled arch=gfx906 opt=O3
	.text
	.amdgcn_target "amdgcn-amd-amdhsa--gfx906"
	.amdhsa_code_object_version 6
	.protected	bluestein_single_back_len98_dim1_half_op_CI_CI ; -- Begin function bluestein_single_back_len98_dim1_half_op_CI_CI
	.globl	bluestein_single_back_len98_dim1_half_op_CI_CI
	.p2align	8
	.type	bluestein_single_back_len98_dim1_half_op_CI_CI,@function
bluestein_single_back_len98_dim1_half_op_CI_CI: ; @bluestein_single_back_len98_dim1_half_op_CI_CI
; %bb.0:
	v_mul_u32_u24_e32 v1, 0x124a, v0
	s_load_dwordx4 s[12:15], s[4:5], 0x28
	v_lshrrev_b32_e32 v1, 16, v1
	v_mad_u64_u32 v[10:11], s[0:1], s6, 18, v[1:2]
	v_mov_b32_e32 v11, 0
	s_waitcnt lgkmcnt(0)
	v_cmp_gt_u64_e32 vcc, s[12:13], v[10:11]
	s_and_saveexec_b64 s[0:1], vcc
	s_cbranch_execz .LBB0_15
; %bb.1:
	s_load_dwordx4 s[0:3], s[4:5], 0x18
	s_load_dwordx2 s[12:13], s[4:5], 0x0
	v_mul_lo_u16_e32 v1, 14, v1
	v_sub_u16_e32 v29, v0, v1
	v_lshlrev_b32_e32 v17, 2, v29
	s_waitcnt lgkmcnt(0)
	s_load_dwordx4 s[8:11], s[0:1], 0x0
	global_load_dword v30, v17, s[12:13]
	s_mov_b32 s6, 0x38e38e39
	v_mul_hi_u32 v8, v10, s6
	v_mov_b32_e32 v9, s13
	s_waitcnt lgkmcnt(0)
	v_mad_u64_u32 v[0:1], s[0:1], s10, v10, 0
	v_mad_u64_u32 v[2:3], s[0:1], s8, v29, 0
	v_lshrrev_b32_e32 v8, 2, v8
	v_mul_lo_u32 v11, v8, 18
	v_mad_u64_u32 v[4:5], s[0:1], s11, v10, v[1:2]
	v_sub_u32_e32 v11, v10, v11
	v_mad_u64_u32 v[5:6], s[0:1], s9, v29, v[3:4]
	v_mov_b32_e32 v1, v4
	v_lshlrev_b64 v[0:1], 2, v[0:1]
	v_mov_b32_e32 v6, s15
	v_mov_b32_e32 v3, v5
	v_add_co_u32_e32 v4, vcc, s14, v0
	v_addc_co_u32_e32 v5, vcc, v6, v1, vcc
	v_lshlrev_b64 v[0:1], 2, v[2:3]
	s_mul_i32 s0, s9, 49
	s_mul_hi_u32 s1, s8, 49
	s_add_i32 s1, s1, s0
	s_mul_i32 s0, s8, 49
	v_add_co_u32_e32 v0, vcc, v4, v0
	s_lshl_b64 s[14:15], s[0:1], 2
	s_mul_hi_u32 s1, s8, 0xffffffdd
	v_addc_co_u32_e32 v1, vcc, v5, v1, vcc
	s_mul_i32 s0, s9, 0xffffffdd
	s_sub_i32 s1, s1, s8
	global_load_dword v2, v[0:1], off
	v_mov_b32_e32 v3, s15
	v_add_co_u32_e32 v0, vcc, s14, v0
	s_add_i32 s1, s1, s0
	s_mul_i32 s0, s8, 0xffffffdd
	v_addc_co_u32_e32 v1, vcc, v1, v3, vcc
	s_lshl_b64 s[0:1], s[0:1], 2
	global_load_dword v4, v[0:1], off
	global_load_dword v28, v17, s[12:13] offset:196
	v_mov_b32_e32 v5, s1
	v_add_co_u32_e32 v0, vcc, s0, v0
	v_addc_co_u32_e32 v1, vcc, v1, v5, vcc
	global_load_dword v6, v[0:1], off
	global_load_dword v27, v17, s[12:13] offset:56
	v_add_co_u32_e32 v0, vcc, s14, v0
	v_addc_co_u32_e32 v1, vcc, v1, v3, vcc
	global_load_dword v7, v[0:1], off
	global_load_dword v26, v17, s[12:13] offset:252
	;; [unrolled: 4-line block ×3, first 2 shown]
	global_load_dword v25, v17, s[12:13] offset:112
	v_add_co_u32_e32 v0, vcc, s14, v0
	v_addc_co_u32_e32 v1, vcc, v1, v3, vcc
	global_load_dword v3, v[0:1], off
	v_mul_u32_u24_e32 v11, 0x62, v11
	v_lshlrev_b32_e32 v15, 2, v11
	v_add_u32_e32 v23, v17, v15
	s_load_dwordx2 s[6:7], s[4:5], 0x38
	s_load_dwordx4 s[8:11], s[2:3], 0x0
	v_add_co_u32_e32 v8, vcc, s12, v17
	v_addc_co_u32_e32 v9, vcc, 0, v9, vcc
	v_cmp_gt_u16_e32 vcc, 7, v29
	s_waitcnt vmcnt(10)
	v_lshrrev_b32_e32 v11, 16, v2
	v_mul_f16_sdwa v12, v30, v2 dst_sel:DWORD dst_unused:UNUSED_PAD src0_sel:WORD_1 src1_sel:DWORD
	v_fma_f16 v12, v30, v11, -v12
	v_mul_f16_sdwa v11, v30, v11 dst_sel:DWORD dst_unused:UNUSED_PAD src0_sel:WORD_1 src1_sel:DWORD
	v_fma_f16 v2, v30, v2, v11
	v_pack_b32_f16 v2, v2, v12
	s_waitcnt vmcnt(9)
	v_lshrrev_b32_e32 v13, 16, v4
	s_waitcnt vmcnt(8)
	v_mul_f16_sdwa v14, v28, v4 dst_sel:DWORD dst_unused:UNUSED_PAD src0_sel:WORD_1 src1_sel:DWORD
	v_fma_f16 v11, v28, v13, -v14
	v_mul_f16_sdwa v13, v28, v13 dst_sel:DWORD dst_unused:UNUSED_PAD src0_sel:WORD_1 src1_sel:DWORD
	v_fma_f16 v4, v28, v4, v13
	v_pack_b32_f16 v4, v4, v11
	s_waitcnt vmcnt(7)
	v_lshrrev_b32_e32 v14, 16, v6
	s_waitcnt vmcnt(6)
	v_mul_f16_sdwa v16, v27, v6 dst_sel:DWORD dst_unused:UNUSED_PAD src0_sel:WORD_1 src1_sel:DWORD
	v_mul_f16_sdwa v13, v27, v14 dst_sel:DWORD dst_unused:UNUSED_PAD src0_sel:WORD_1 src1_sel:DWORD
	v_fma_f16 v12, v27, v14, -v16
	v_fma_f16 v6, v27, v6, v13
	s_waitcnt vmcnt(5)
	v_lshrrev_b32_e32 v14, 16, v7
	ds_write_b32 v23, v4 offset:196
	v_pack_b32_f16 v4, v6, v12
	s_waitcnt vmcnt(4)
	v_mul_f16_sdwa v11, v26, v14 dst_sel:DWORD dst_unused:UNUSED_PAD src0_sel:WORD_1 src1_sel:DWORD
	ds_write2_b32 v23, v2, v4 offset1:14
	v_mul_f16_sdwa v4, v26, v7 dst_sel:DWORD dst_unused:UNUSED_PAD src0_sel:WORD_1 src1_sel:DWORD
	v_fma_f16 v2, v26, v7, v11
	v_fma_f16 v4, v26, v14, -v4
	v_pack_b32_f16 v2, v2, v4
	s_waitcnt vmcnt(3)
	v_lshrrev_b32_e32 v4, 16, v5
	s_waitcnt vmcnt(1)
	v_mul_f16_sdwa v6, v25, v4 dst_sel:DWORD dst_unused:UNUSED_PAD src0_sel:WORD_1 src1_sel:DWORD
	v_fma_f16 v6, v25, v5, v6
	v_mul_f16_sdwa v5, v25, v5 dst_sel:DWORD dst_unused:UNUSED_PAD src0_sel:WORD_1 src1_sel:DWORD
	v_fma_f16 v4, v25, v4, -v5
	v_pack_b32_f16 v4, v6, v4
	ds_write_b32 v23, v4 offset:112
	s_waitcnt vmcnt(0)
	v_lshrrev_b32_e32 v4, 16, v3
	v_mul_f16_sdwa v5, v24, v4 dst_sel:DWORD dst_unused:UNUSED_PAD src0_sel:WORD_1 src1_sel:DWORD
	v_fma_f16 v5, v24, v3, v5
	v_mul_f16_sdwa v3, v24, v3 dst_sel:DWORD dst_unused:UNUSED_PAD src0_sel:WORD_1 src1_sel:DWORD
	v_fma_f16 v3, v24, v4, -v3
	v_pack_b32_f16 v3, v5, v3
	ds_write2_b32 v23, v2, v3 offset0:63 offset1:77
	s_and_saveexec_b64 s[2:3], vcc
	s_cbranch_execz .LBB0_3
; %bb.2:
	v_mov_b32_e32 v2, s1
	v_add_co_u32_e64 v0, s[0:1], s0, v0
	v_addc_co_u32_e64 v1, s[0:1], v1, v2, s[0:1]
	global_load_dword v2, v[0:1], off
	global_load_dword v3, v[8:9], off offset:168
	v_mov_b32_e32 v4, s15
	v_add_co_u32_e64 v0, s[0:1], s14, v0
	v_addc_co_u32_e64 v1, s[0:1], v1, v4, s[0:1]
	global_load_dword v4, v[0:1], off
	global_load_dword v5, v[8:9], off offset:364
	s_waitcnt vmcnt(3)
	v_lshrrev_b32_e32 v0, 16, v2
	s_waitcnt vmcnt(2)
	v_mul_f16_sdwa v1, v3, v2 dst_sel:DWORD dst_unused:UNUSED_PAD src0_sel:WORD_1 src1_sel:DWORD
	v_mul_f16_sdwa v6, v3, v0 dst_sel:DWORD dst_unused:UNUSED_PAD src0_sel:WORD_1 src1_sel:DWORD
	v_fma_f16 v0, v3, v0, -v1
	v_fma_f16 v2, v3, v2, v6
	v_pack_b32_f16 v0, v2, v0
	s_waitcnt vmcnt(1)
	v_lshrrev_b32_e32 v1, 16, v4
	s_waitcnt vmcnt(0)
	v_mul_f16_sdwa v7, v5, v4 dst_sel:DWORD dst_unused:UNUSED_PAD src0_sel:WORD_1 src1_sel:DWORD
	v_mul_f16_sdwa v3, v5, v1 dst_sel:DWORD dst_unused:UNUSED_PAD src0_sel:WORD_1 src1_sel:DWORD
	v_fma_f16 v2, v5, v4, v3
	v_fma_f16 v1, v5, v1, -v7
	v_pack_b32_f16 v1, v2, v1
	ds_write2_b32 v23, v0, v1 offset0:42 offset1:91
.LBB0_3:
	s_or_b64 exec, exec, s[2:3]
	s_waitcnt lgkmcnt(0)
	s_barrier
	ds_read2_b32 v[4:5], v23 offset1:14
	ds_read2_b32 v[2:3], v23 offset0:28 offset1:49
	ds_read2_b32 v[6:7], v23 offset0:63 offset1:77
	s_load_dwordx2 s[2:3], s[4:5], 0x8
                                        ; implicit-def: $vgpr0
	s_and_saveexec_b64 s[0:1], vcc
	s_cbranch_execz .LBB0_5
; %bb.4:
	ds_read2_b32 v[0:1], v23 offset0:42 offset1:91
.LBB0_5:
	s_or_b64 exec, exec, s[0:1]
	v_add_co_u32_e64 v11, s[0:1], 42, v29
	s_waitcnt lgkmcnt(0)
	v_pk_add_f16 v14, v4, v3 neg_lo:[0,1] neg_hi:[0,1]
	v_pk_add_f16 v6, v5, v6 neg_lo:[0,1] neg_hi:[0,1]
	;; [unrolled: 1-line block ×4, first 2 shown]
	v_lshlrev_b16_e32 v1, 1, v29
	v_lshl_add_u32 v32, v1, 2, v15
	v_pk_fma_f16 v13, v4, 2.0, v14 op_sel_hi:[1,0,1] neg_lo:[0,0,1] neg_hi:[0,0,1]
	v_lshl_add_u32 v33, v29, 3, v15
	v_pk_fma_f16 v5, v5, 2.0, v6 op_sel_hi:[1,0,1] neg_lo:[0,0,1] neg_hi:[0,0,1]
	v_pk_fma_f16 v2, v2, 2.0, v3 op_sel_hi:[1,0,1] neg_lo:[0,0,1] neg_hi:[0,0,1]
	v_lshl_add_u32 v31, v11, 3, v15
	s_barrier
	ds_write_b64 v32, v[13:14]
	ds_write2_b64 v33, v[5:6], v[2:3] offset0:14 offset1:28
	s_and_saveexec_b64 s[0:1], vcc
	s_cbranch_execz .LBB0_7
; %bb.6:
	v_pk_fma_f16 v11, v0, 2.0, v12 op_sel_hi:[1,0,1] neg_lo:[0,0,1] neg_hi:[0,0,1]
	ds_write_b64 v31, v[11:12]
.LBB0_7:
	s_or_b64 exec, exec, s[0:1]
	v_and_b32_e32 v11, 1, v29
	v_mul_u32_u24_e32 v0, 6, v11
	v_lshlrev_b32_e32 v4, 2, v0
	s_waitcnt lgkmcnt(0)
	s_barrier
	global_load_dwordx4 v[0:3], v4, s[2:3]
	global_load_dwordx2 v[13:14], v4, s[2:3] offset:16
	ds_read2_b32 v[4:5], v23 offset0:28 offset1:42
	ds_read2_b32 v[6:7], v23 offset0:56 offset1:70
	ds_read_b32 v20, v23 offset:336
	ds_read2_b32 v[18:19], v23 offset1:14
	v_lshrrev_b32_e32 v16, 1, v29
	v_mul_u32_u24_e32 v16, 14, v16
	v_or_b32_e32 v11, v16, v11
	v_lshl_add_u32 v34, v11, 2, v15
	s_waitcnt lgkmcnt(3)
	v_lshrrev_b32_e32 v11, 16, v4
	s_waitcnt lgkmcnt(2)
	v_lshrrev_b32_e32 v21, 16, v7
	;; [unrolled: 2-line block ×4, first 2 shown]
	v_lshrrev_b32_e32 v15, 16, v5
	v_lshrrev_b32_e32 v16, 16, v6
	s_mov_b32 s5, 0xbcab
	s_movk_i32 s4, 0x2b26
	s_movk_i32 s1, 0x3574
	;; [unrolled: 1-line block ×4, first 2 shown]
	s_mov_b32 s17, 0xb574
	s_waitcnt vmcnt(0)
	s_barrier
	s_movk_i32 s14, 0x39e0
	s_mov_b32 s15, 0xb9e0
	v_mul_f16_sdwa v36, v11, v1 dst_sel:DWORD dst_unused:UNUSED_PAD src0_sel:DWORD src1_sel:WORD_1
	v_mul_f16_sdwa v37, v4, v1 dst_sel:DWORD dst_unused:UNUSED_PAD src0_sel:DWORD src1_sel:WORD_1
	;; [unrolled: 1-line block ×12, first 2 shown]
	v_fma_f16 v4, v4, v1, -v36
	v_fma_f16 v7, v7, v13, -v41
	v_fma_f16 v11, v11, v1, v37
	v_fma_f16 v21, v21, v13, v43
	v_fma_f16 v20, v20, v14, -v44
	v_fma_f16 v22, v22, v14, v45
	v_fma_f16 v35, v35, v0, v46
	v_fma_f16 v19, v19, v0, -v47
	v_fma_f16 v5, v5, v2, -v38
	v_fma_f16 v6, v6, v3, -v40
	v_fma_f16 v15, v15, v2, v39
	v_fma_f16 v16, v16, v3, v42
	v_add_f16_e32 v36, v19, v20
	v_sub_f16_e32 v19, v19, v20
	v_add_f16_e32 v20, v35, v22
	v_sub_f16_e32 v22, v35, v22
	;; [unrolled: 2-line block ×6, first 2 shown]
	v_add_f16_e32 v16, v35, v36
	v_add_f16_e32 v37, v7, v20
	v_sub_f16_e32 v38, v36, v21
	v_sub_f16_e32 v40, v20, v6
	;; [unrolled: 1-line block ×3, first 2 shown]
	v_add_f16_e32 v44, v15, v11
	v_add_f16_e32 v16, v21, v16
	;; [unrolled: 1-line block ×3, first 2 shown]
	v_sub_f16_e32 v39, v21, v35
	v_add_f16_e32 v42, v5, v4
	v_sub_f16_e32 v43, v5, v4
	v_sub_f16_e32 v45, v15, v11
	v_add_f16_e32 v37, v44, v22
	v_mul_f16_e32 v38, 0x3a52, v38
	v_mul_f16_e32 v40, 0x3a52, v40
	v_add_f16_e32 v44, v18, v16
	v_add_f16_sdwa v18, v18, v6 dst_sel:DWORD dst_unused:UNUSED_PAD src0_sel:WORD_1 src1_sel:DWORD
	v_sub_f16_e32 v5, v19, v5
	v_sub_f16_e32 v15, v22, v15
	v_add_f16_e32 v21, v42, v19
	v_mul_f16_e32 v42, 0xb846, v43
	v_mul_f16_e32 v43, 0xb846, v45
	v_fma_f16 v45, v39, s4, v38
	v_fma_f16 v46, v41, s4, v40
	;; [unrolled: 1-line block ×4, first 2 shown]
	v_pack_b32_f16 v18, v44, v18
	v_add_f16_e32 v44, v45, v16
	v_add_f16_e32 v45, v46, v6
	v_fma_f16 v46, v5, s1, v42
	v_fma_f16 v47, v15, s1, v43
	;; [unrolled: 1-line block ×4, first 2 shown]
	v_add_f16_e32 v48, v47, v44
	v_sub_f16_e32 v49, v45, v46
	v_sub_f16_e32 v4, v4, v19
	v_pack_b32_f16 v48, v48, v49
	v_sub_f16_e32 v11, v11, v22
	v_fma_f16 v22, v4, s16, -v42
	v_mul_f16_e32 v4, 0x3b00, v4
	ds_write2_b32 v34, v18, v48 offset1:2
	v_sub_f16_e32 v18, v35, v36
	v_sub_f16_e32 v7, v7, v20
	v_mul_f16_e32 v19, 0x2b26, v39
	v_mul_f16_e32 v20, 0x2b26, v41
	v_fma_f16 v4, v5, s17, -v4
	v_fma_f16 v5, v11, s16, -v43
	v_mul_f16_e32 v11, 0x3b00, v11
	v_fma_f16 v19, v18, s14, -v19
	v_fma_f16 v18, v18, s15, -v38
	;; [unrolled: 1-line block ×5, first 2 shown]
	v_add_f16_e32 v15, v19, v16
	v_add_f16_e32 v16, v18, v16
	;; [unrolled: 1-line block ×4, first 2 shown]
	v_fma_f16 v7, v21, s0, v22
	v_fma_f16 v4, v21, s0, v4
	;; [unrolled: 1-line block ×4, first 2 shown]
	v_sub_f16_e32 v19, v15, v5
	v_add_f16_e32 v5, v5, v15
	v_add_f16_e32 v15, v7, v18
	v_sub_f16_e32 v7, v18, v7
	v_add_f16_e32 v18, v11, v16
	v_sub_f16_e32 v11, v16, v11
	v_sub_f16_e32 v16, v6, v4
	v_pack_b32_f16 v16, v18, v16
	v_pack_b32_f16 v15, v19, v15
	v_mad_u64_u32 v[18:19], s[2:3], v29, 24, s[2:3]
	v_add_f16_e32 v4, v4, v6
	v_sub_f16_e32 v6, v44, v47
	v_add_f16_e32 v20, v46, v45
	v_pack_b32_f16 v5, v5, v7
	v_pack_b32_f16 v4, v11, v4
	ds_write2_b32 v34, v5, v4 offset0:8 offset1:10
	v_pack_b32_f16 v4, v6, v20
	ds_write2_b32 v34, v16, v15 offset0:4 offset1:6
	ds_write_b32 v34, v4 offset:48
	s_waitcnt lgkmcnt(0)
	s_barrier
	global_load_dwordx4 v[4:7], v[18:19], off offset:48
	global_load_dwordx2 v[15:16], v[18:19], off offset:64
	ds_read2_b32 v[18:19], v23 offset0:28 offset1:42
	ds_read2_b32 v[20:21], v23 offset0:56 offset1:70
	ds_read_b32 v11, v23 offset:336
	s_waitcnt lgkmcnt(2)
	v_lshrrev_b32_e32 v22, 16, v18
	v_lshrrev_b32_e32 v35, 16, v19
	s_waitcnt lgkmcnt(1)
	v_lshrrev_b32_e32 v37, 16, v21
	v_lshrrev_b32_e32 v36, 16, v20
	s_waitcnt vmcnt(1)
	v_mul_f16_sdwa v38, v22, v5 dst_sel:DWORD dst_unused:UNUSED_PAD src0_sel:DWORD src1_sel:WORD_1
	v_mul_f16_sdwa v39, v35, v6 dst_sel:DWORD dst_unused:UNUSED_PAD src0_sel:DWORD src1_sel:WORD_1
	;; [unrolled: 1-line block ×3, first 2 shown]
	s_waitcnt vmcnt(0)
	v_mul_f16_sdwa v44, v37, v15 dst_sel:DWORD dst_unused:UNUSED_PAD src0_sel:DWORD src1_sel:WORD_1
	v_fma_f16 v38, v18, v5, -v38
	v_mul_f16_sdwa v18, v21, v15 dst_sel:DWORD dst_unused:UNUSED_PAD src0_sel:DWORD src1_sel:WORD_1
	v_mul_f16_sdwa v41, v19, v6 dst_sel:DWORD dst_unused:UNUSED_PAD src0_sel:DWORD src1_sel:WORD_1
	v_fma_f16 v39, v19, v6, -v39
	v_fma_f16 v22, v22, v5, v40
	v_fma_f16 v40, v21, v15, -v44
	v_fma_f16 v21, v37, v15, v18
	ds_read2_b32 v[18:19], v23 offset1:14
	s_waitcnt lgkmcnt(1)
	v_lshrrev_b32_e32 v37, 16, v11
	v_fma_f16 v35, v35, v6, v41
	v_mul_f16_sdwa v41, v37, v16 dst_sel:DWORD dst_unused:UNUSED_PAD src0_sel:DWORD src1_sel:WORD_1
	v_mul_f16_sdwa v42, v20, v7 dst_sel:DWORD dst_unused:UNUSED_PAD src0_sel:DWORD src1_sel:WORD_1
	v_fma_f16 v41, v11, v16, -v41
	v_mul_f16_sdwa v11, v11, v16 dst_sel:DWORD dst_unused:UNUSED_PAD src0_sel:DWORD src1_sel:WORD_1
	v_mul_f16_sdwa v43, v36, v7 dst_sel:DWORD dst_unused:UNUSED_PAD src0_sel:DWORD src1_sel:WORD_1
	v_fma_f16 v36, v36, v7, v42
	v_fma_f16 v11, v37, v16, v11
	s_waitcnt lgkmcnt(0)
	v_lshrrev_b32_e32 v37, 16, v19
	v_mul_f16_sdwa v42, v19, v4 dst_sel:DWORD dst_unused:UNUSED_PAD src0_sel:DWORD src1_sel:WORD_1
	v_fma_f16 v42, v37, v4, v42
	v_mul_f16_sdwa v37, v37, v4 dst_sel:DWORD dst_unused:UNUSED_PAD src0_sel:DWORD src1_sel:WORD_1
	v_fma_f16 v19, v19, v4, -v37
	v_fma_f16 v20, v20, v7, -v43
	v_add_f16_e32 v37, v19, v41
	v_add_f16_e32 v43, v38, v40
	v_sub_f16_e32 v19, v19, v41
	v_add_f16_e32 v41, v42, v11
	v_sub_f16_e32 v42, v42, v11
	v_sub_f16_e32 v38, v38, v40
	v_add_f16_e32 v40, v22, v21
	v_sub_f16_e32 v21, v22, v21
	v_add_f16_e32 v11, v39, v20
	v_add_f16_e32 v22, v35, v36
	v_sub_f16_e32 v35, v36, v35
	v_add_f16_e32 v36, v43, v37
	v_add_f16_e32 v36, v11, v36
	v_sub_f16_e32 v45, v37, v11
	v_sub_f16_e32 v20, v20, v39
	v_add_f16_e32 v39, v40, v41
	v_add_f16_e32 v44, v18, v36
	v_sub_f16_e32 v46, v11, v43
	v_add_f16_e32 v11, v35, v21
	v_sub_f16_e32 v47, v35, v21
	v_mul_f16_e32 v45, 0x3a52, v45
	v_add_f16_e32 v39, v22, v39
	v_sub_f16_e32 v35, v42, v35
	v_add_f16_e32 v48, v11, v42
	v_mul_f16_e32 v47, 0xb846, v47
	v_fma_f16 v36, v36, s5, v44
	v_fma_f16 v11, v46, s4, v45
	v_add_f16_sdwa v18, v18, v39 dst_sel:DWORD dst_unused:UNUSED_PAD src0_sel:WORD_1 src1_sel:DWORD
	v_add_f16_e32 v49, v11, v36
	v_fma_f16 v11, v35, s1, v47
	v_fma_f16 v50, v48, s0, v11
	;; [unrolled: 1-line block ×3, first 2 shown]
	v_pack_b32_f16 v18, v44, v18
	v_sub_f16_e32 v44, v41, v22
	v_sub_f16_e32 v51, v20, v38
	v_sub_f16_e32 v11, v49, v50
	v_add_f16_e32 v49, v50, v49
	v_sub_f16_e32 v22, v22, v40
	v_add_f16_e32 v50, v20, v38
	v_sub_f16_e32 v20, v19, v20
	v_mul_f16_e32 v44, 0x3a52, v44
	v_mul_f16_e32 v51, 0xb846, v51
	v_add_f16_e32 v50, v50, v19
	v_fma_f16 v52, v22, s4, v44
	v_fma_f16 v53, v20, s1, v51
	v_add_f16_e32 v52, v52, v39
	v_fma_f16 v53, v50, s0, v53
	v_sub_f16_e32 v54, v52, v53
	v_pack_b32_f16 v49, v49, v54
	v_sub_f16_e32 v19, v38, v19
	ds_write2_b32 v23, v18, v49 offset1:14
	v_sub_f16_e32 v18, v43, v37
	v_sub_f16_e32 v37, v40, v41
	;; [unrolled: 1-line block ×3, first 2 shown]
	v_fma_f16 v40, v19, s16, -v51
	v_mul_f16_e32 v19, 0x3b00, v19
	v_mul_f16_e32 v38, 0x2b26, v46
	;; [unrolled: 1-line block ×3, first 2 shown]
	v_fma_f16 v19, v20, s17, -v19
	v_fma_f16 v20, v21, s16, -v47
	v_mul_f16_e32 v21, 0x3b00, v21
	v_fma_f16 v38, v18, s14, -v38
	v_fma_f16 v18, v18, s15, -v45
	;; [unrolled: 1-line block ×5, first 2 shown]
	v_add_f16_e32 v35, v38, v36
	v_add_f16_e32 v18, v18, v36
	v_add_f16_e32 v36, v37, v39
	v_fma_f16 v19, v50, s0, v19
	v_fma_f16 v21, v48, s0, v21
	v_add_f16_e32 v22, v22, v39
	v_fma_f16 v37, v50, s0, v40
	v_fma_f16 v20, v48, s0, v20
	v_add_f16_e32 v38, v21, v18
	v_sub_f16_e32 v39, v36, v19
	v_pack_b32_f16 v38, v38, v39
	v_sub_f16_e32 v39, v35, v20
	v_add_f16_e32 v40, v37, v22
	v_add_f16_e32 v20, v20, v35
	v_sub_f16_e32 v22, v22, v37
	v_sub_f16_e32 v18, v18, v21
	v_add_f16_e32 v19, v19, v36
	v_add_f16_e32 v35, v53, v52
	v_pack_b32_f16 v20, v20, v22
	v_pack_b32_f16 v18, v18, v19
	;; [unrolled: 1-line block ×3, first 2 shown]
	ds_write2_b32 v23, v20, v18 offset0:56 offset1:70
	v_pack_b32_f16 v18, v11, v35
	ds_write2_b32 v23, v38, v39 offset0:28 offset1:42
	ds_write_b32 v23, v18 offset:336
	s_waitcnt lgkmcnt(0)
	s_barrier
	global_load_dword v20, v[8:9], off offset:392
	s_add_u32 s0, s12, 0x188
	s_addc_u32 s1, s13, 0
	global_load_dword v21, v17, s[0:1] offset:56
	global_load_dword v22, v17, s[0:1] offset:196
	;; [unrolled: 1-line block ×5, first 2 shown]
	ds_read2_b32 v[18:19], v23 offset1:14
	s_waitcnt lgkmcnt(0)
	v_lshrrev_b32_e32 v39, 16, v18
	s_waitcnt vmcnt(4)
	v_mul_f16_sdwa v42, v19, v21 dst_sel:DWORD dst_unused:UNUSED_PAD src0_sel:DWORD src1_sel:WORD_1
	v_mul_f16_sdwa v40, v18, v20 dst_sel:DWORD dst_unused:UNUSED_PAD src0_sel:DWORD src1_sel:WORD_1
	v_fma_f16 v40, v39, v20, v40
	v_mul_f16_sdwa v39, v39, v20 dst_sel:DWORD dst_unused:UNUSED_PAD src0_sel:DWORD src1_sel:WORD_1
	v_fma_f16 v20, v18, v20, -v39
	v_lshrrev_b32_e32 v39, 16, v19
	v_mul_f16_sdwa v18, v39, v21 dst_sel:DWORD dst_unused:UNUSED_PAD src0_sel:DWORD src1_sel:WORD_1
	v_fma_f16 v41, v19, v21, -v18
	ds_read2_b32 v[18:19], v23 offset0:28 offset1:49
	v_fma_f16 v21, v39, v21, v42
	v_pack_b32_f16 v20, v20, v40
	v_pack_b32_f16 v21, v41, v21
	ds_write2_b32 v23, v20, v21 offset1:14
	s_waitcnt lgkmcnt(1)
	v_lshrrev_b32_e32 v20, 16, v19
	s_waitcnt vmcnt(3)
	v_mul_f16_sdwa v21, v19, v22 dst_sel:DWORD dst_unused:UNUSED_PAD src0_sel:DWORD src1_sel:WORD_1
	v_fma_f16 v21, v20, v22, v21
	v_mul_f16_sdwa v20, v20, v22 dst_sel:DWORD dst_unused:UNUSED_PAD src0_sel:DWORD src1_sel:WORD_1
	v_fma_f16 v20, v19, v22, -v20
	v_lshrrev_b32_e32 v22, 16, v18
	s_waitcnt vmcnt(0)
	v_mul_f16_sdwa v19, v22, v38 dst_sel:DWORD dst_unused:UNUSED_PAD src0_sel:DWORD src1_sel:WORD_1
	v_fma_f16 v39, v18, v38, -v19
	v_mul_f16_sdwa v40, v18, v38 dst_sel:DWORD dst_unused:UNUSED_PAD src0_sel:DWORD src1_sel:WORD_1
	ds_read2_b32 v[18:19], v23 offset0:63 offset1:77
	v_fma_f16 v22, v22, v38, v40
	v_pack_b32_f16 v20, v20, v21
	v_pack_b32_f16 v21, v39, v22
	ds_write2_b32 v23, v21, v20 offset0:28 offset1:49
	s_waitcnt lgkmcnt(1)
	v_lshrrev_b32_e32 v20, 16, v18
	v_mul_f16_sdwa v21, v18, v36 dst_sel:DWORD dst_unused:UNUSED_PAD src0_sel:DWORD src1_sel:WORD_1
	v_fma_f16 v21, v20, v36, v21
	v_mul_f16_sdwa v20, v20, v36 dst_sel:DWORD dst_unused:UNUSED_PAD src0_sel:DWORD src1_sel:WORD_1
	v_fma_f16 v18, v18, v36, -v20
	v_lshrrev_b32_e32 v20, 16, v19
	v_mul_f16_sdwa v22, v20, v37 dst_sel:DWORD dst_unused:UNUSED_PAD src0_sel:DWORD src1_sel:WORD_1
	v_fma_f16 v22, v19, v37, -v22
	v_mul_f16_sdwa v19, v19, v37 dst_sel:DWORD dst_unused:UNUSED_PAD src0_sel:DWORD src1_sel:WORD_1
	v_fma_f16 v19, v20, v37, v19
	v_pack_b32_f16 v18, v18, v21
	v_pack_b32_f16 v19, v22, v19
	ds_write2_b32 v23, v18, v19 offset0:63 offset1:77
	s_and_saveexec_b64 s[2:3], vcc
	s_cbranch_execz .LBB0_9
; %bb.8:
	v_mov_b32_e32 v18, s1
	v_add_co_u32_e64 v17, s[0:1], s0, v17
	v_addc_co_u32_e64 v18, s[0:1], 0, v18, s[0:1]
	global_load_dword v19, v[17:18], off offset:168
	global_load_dword v20, v[17:18], off offset:364
	ds_read2_b32 v[17:18], v23 offset0:42 offset1:91
	s_waitcnt lgkmcnt(0)
	v_lshrrev_b32_e32 v21, 16, v17
	v_lshrrev_b32_e32 v22, 16, v18
	s_waitcnt vmcnt(1)
	v_mul_f16_sdwa v36, v21, v19 dst_sel:DWORD dst_unused:UNUSED_PAD src0_sel:DWORD src1_sel:WORD_1
	v_mul_f16_sdwa v37, v17, v19 dst_sel:DWORD dst_unused:UNUSED_PAD src0_sel:DWORD src1_sel:WORD_1
	s_waitcnt vmcnt(0)
	v_mul_f16_sdwa v38, v22, v20 dst_sel:DWORD dst_unused:UNUSED_PAD src0_sel:DWORD src1_sel:WORD_1
	v_mul_f16_sdwa v39, v18, v20 dst_sel:DWORD dst_unused:UNUSED_PAD src0_sel:DWORD src1_sel:WORD_1
	v_fma_f16 v17, v17, v19, -v36
	v_fma_f16 v19, v21, v19, v37
	v_fma_f16 v18, v18, v20, -v38
	v_fma_f16 v20, v22, v20, v39
	v_pack_b32_f16 v17, v17, v19
	v_pack_b32_f16 v18, v18, v20
	ds_write2_b32 v23, v17, v18 offset0:42 offset1:91
.LBB0_9:
	s_or_b64 exec, exec, s[2:3]
	s_waitcnt lgkmcnt(0)
	s_barrier
	ds_read2_b32 v[19:20], v23 offset1:14
	ds_read2_b32 v[17:18], v23 offset0:28 offset1:49
	ds_read2_b32 v[21:22], v23 offset0:63 offset1:77
	v_add_u32_e32 v36, 0x70, v33
	v_add_u32_e32 v33, 0xe0, v33
	s_and_saveexec_b64 s[0:1], vcc
	s_cbranch_execz .LBB0_11
; %bb.10:
	ds_read2_b32 v[11:12], v23 offset0:42 offset1:91
	s_waitcnt lgkmcnt(0)
	v_lshrrev_b32_e32 v35, 16, v11
.LBB0_11:
	s_or_b64 exec, exec, s[0:1]
	s_waitcnt lgkmcnt(1)
	v_pk_add_f16 v38, v19, v18 neg_lo:[0,1] neg_hi:[0,1]
	s_waitcnt lgkmcnt(0)
	v_pk_add_f16 v21, v20, v21 neg_lo:[0,1] neg_hi:[0,1]
	v_pk_add_f16 v18, v17, v22 neg_lo:[0,1] neg_hi:[0,1]
	v_pk_fma_f16 v37, v19, 2.0, v38 op_sel_hi:[1,0,1] neg_lo:[0,0,1] neg_hi:[0,0,1]
	v_pk_fma_f16 v20, v20, 2.0, v21 op_sel_hi:[1,0,1] neg_lo:[0,0,1] neg_hi:[0,0,1]
	;; [unrolled: 1-line block ×3, first 2 shown]
	s_barrier
	ds_write_b64 v32, v[37:38]
	ds_write_b64 v36, v[20:21]
	ds_write_b64 v33, v[17:18]
	s_and_saveexec_b64 s[0:1], vcc
	s_cbranch_execz .LBB0_13
; %bb.12:
	v_sub_f16_e32 v17, v11, v12
	v_sub_f16_sdwa v12, v35, v12 dst_sel:DWORD dst_unused:UNUSED_PAD src0_sel:DWORD src1_sel:WORD_1
	v_fma_f16 v11, v11, 2.0, -v17
	v_fma_f16 v18, v35, 2.0, -v12
	v_pack_b32_f16 v12, v17, v12
	v_pack_b32_f16 v11, v11, v18
	ds_write_b64 v31, v[11:12]
.LBB0_13:
	s_or_b64 exec, exec, s[0:1]
	s_waitcnt lgkmcnt(0)
	s_barrier
	ds_read2_b32 v[11:12], v23 offset1:14
	ds_read2_b32 v[17:18], v23 offset0:28 offset1:42
	ds_read2_b32 v[19:20], v23 offset0:56 offset1:70
	ds_read_b32 v22, v23 offset:336
	s_movk_i32 s0, 0x2b26
	s_waitcnt lgkmcnt(3)
	v_lshrrev_b32_e32 v21, 16, v12
	v_mul_f16_sdwa v37, v0, v21 dst_sel:DWORD dst_unused:UNUSED_PAD src0_sel:WORD_1 src1_sel:DWORD
	s_waitcnt lgkmcnt(2)
	v_lshrrev_b32_e32 v31, 16, v17
	v_fma_f16 v37, v0, v12, v37
	v_mul_f16_sdwa v12, v0, v12 dst_sel:DWORD dst_unused:UNUSED_PAD src0_sel:WORD_1 src1_sel:DWORD
	v_fma_f16 v0, v0, v21, -v12
	v_mul_f16_sdwa v12, v1, v31 dst_sel:DWORD dst_unused:UNUSED_PAD src0_sel:WORD_1 src1_sel:DWORD
	v_lshrrev_b32_e32 v32, 16, v18
	v_fma_f16 v12, v1, v17, v12
	v_mul_f16_sdwa v17, v1, v17 dst_sel:DWORD dst_unused:UNUSED_PAD src0_sel:WORD_1 src1_sel:DWORD
	v_fma_f16 v1, v1, v31, -v17
	v_mul_f16_sdwa v17, v2, v32 dst_sel:DWORD dst_unused:UNUSED_PAD src0_sel:WORD_1 src1_sel:DWORD
	s_waitcnt lgkmcnt(1)
	v_lshrrev_b32_e32 v33, 16, v19
	v_fma_f16 v17, v2, v18, v17
	v_mul_f16_sdwa v18, v2, v18 dst_sel:DWORD dst_unused:UNUSED_PAD src0_sel:WORD_1 src1_sel:DWORD
	v_fma_f16 v2, v2, v32, -v18
	v_mul_f16_sdwa v18, v3, v33 dst_sel:DWORD dst_unused:UNUSED_PAD src0_sel:WORD_1 src1_sel:DWORD
	v_lshrrev_b32_e32 v35, 16, v20
	v_fma_f16 v18, v3, v19, v18
	v_mul_f16_sdwa v19, v3, v19 dst_sel:DWORD dst_unused:UNUSED_PAD src0_sel:WORD_1 src1_sel:DWORD
	v_fma_f16 v3, v3, v33, -v19
	v_mul_f16_sdwa v19, v13, v35 dst_sel:DWORD dst_unused:UNUSED_PAD src0_sel:WORD_1 src1_sel:DWORD
	s_waitcnt lgkmcnt(0)
	v_lshrrev_b32_e32 v36, 16, v22
	v_fma_f16 v19, v13, v20, v19
	v_mul_f16_sdwa v20, v13, v20 dst_sel:DWORD dst_unused:UNUSED_PAD src0_sel:WORD_1 src1_sel:DWORD
	v_fma_f16 v13, v13, v35, -v20
	v_mul_f16_sdwa v20, v14, v36 dst_sel:DWORD dst_unused:UNUSED_PAD src0_sel:WORD_1 src1_sel:DWORD
	v_mul_f16_sdwa v21, v14, v22 dst_sel:DWORD dst_unused:UNUSED_PAD src0_sel:WORD_1 src1_sel:DWORD
	v_fma_f16 v20, v14, v22, v20
	v_fma_f16 v14, v14, v36, -v21
	v_add_f16_e32 v21, v37, v20
	v_add_f16_e32 v22, v0, v14
	v_sub_f16_e32 v0, v0, v14
	v_add_f16_e32 v14, v12, v19
	v_add_f16_e32 v31, v1, v13
	v_sub_f16_e32 v20, v37, v20
	v_sub_f16_e32 v12, v12, v19
	;; [unrolled: 1-line block ×3, first 2 shown]
	v_add_f16_e32 v13, v17, v18
	v_add_f16_e32 v19, v2, v3
	v_sub_f16_e32 v17, v18, v17
	v_sub_f16_e32 v2, v3, v2
	v_add_f16_e32 v3, v14, v21
	v_add_f16_e32 v18, v31, v22
	v_sub_f16_e32 v32, v14, v21
	v_sub_f16_e32 v33, v31, v22
	;; [unrolled: 1-line block ×6, first 2 shown]
	v_add_f16_e32 v35, v17, v12
	v_add_f16_e32 v36, v2, v1
	v_sub_f16_e32 v37, v17, v12
	v_sub_f16_e32 v38, v2, v1
	;; [unrolled: 1-line block ×4, first 2 shown]
	v_add_f16_e32 v3, v13, v3
	v_add_f16_e32 v13, v19, v18
	v_sub_f16_e32 v17, v20, v17
	v_sub_f16_e32 v2, v0, v2
	v_add_f16_e32 v18, v35, v20
	v_add_f16_e32 v0, v36, v0
	v_add_f16_e32 v19, v11, v3
	v_add_f16_sdwa v11, v11, v13 dst_sel:DWORD dst_unused:UNUSED_PAD src0_sel:WORD_1 src1_sel:DWORD
	v_mul_f16_e32 v20, 0x3a52, v21
	v_mul_f16_e32 v21, 0x3a52, v22
	;; [unrolled: 1-line block ×6, first 2 shown]
	s_mov_b32 s1, 0xbb00
	v_mul_f16_e32 v38, 0xbb00, v12
	v_mul_f16_e32 v39, 0xbb00, v1
	s_mov_b32 s2, 0xbcab
	s_movk_i32 s3, 0x39e0
	s_mov_b32 s4, 0xb9e0
	s_mov_b32 s5, 0xb574
	s_movk_i32 s12, 0x3574
	v_fma_f16 v3, v3, s2, v19
	v_fma_f16 v13, v13, s2, v11
	;; [unrolled: 1-line block ×4, first 2 shown]
	v_fma_f16 v22, v32, s3, -v22
	v_fma_f16 v35, v33, s3, -v35
	;; [unrolled: 1-line block ×4, first 2 shown]
	v_fma_f16 v32, v17, s5, v36
	v_fma_f16 v33, v2, s5, v37
	v_fma_f16 v12, v12, s1, -v36
	v_fma_f16 v1, v1, s1, -v37
	;; [unrolled: 1-line block ×4, first 2 shown]
	s_mov_b32 s13, 0xb70e
	v_add_f16_e32 v14, v14, v3
	v_add_f16_e32 v31, v31, v13
	;; [unrolled: 1-line block ×6, first 2 shown]
	v_fma_f16 v20, v18, s13, v32
	v_fma_f16 v21, v0, s13, v33
	;; [unrolled: 1-line block ×6, first 2 shown]
	v_add_f16_e32 v2, v21, v14
	v_sub_f16_e32 v18, v31, v20
	v_add_f16_e32 v32, v0, v3
	v_sub_f16_e32 v36, v22, v1
	v_add_f16_e32 v37, v12, v35
	v_add_f16_e32 v1, v1, v22
	v_sub_f16_e32 v12, v35, v12
	v_sub_f16_e32 v0, v3, v0
	v_add_f16_e32 v3, v17, v13
	v_sub_f16_e32 v33, v13, v17
	v_sub_f16_e32 v13, v14, v21
	v_add_f16_e32 v14, v20, v31
	v_pack_b32_f16 v11, v19, v11
	v_pack_b32_f16 v2, v2, v18
	;; [unrolled: 1-line block ×4, first 2 shown]
	s_barrier
	ds_write2_b32 v34, v11, v2 offset1:2
	v_pack_b32_f16 v2, v32, v33
	v_pack_b32_f16 v11, v36, v37
	ds_write2_b32 v34, v1, v0 offset0:8 offset1:10
	v_pack_b32_f16 v0, v13, v14
	ds_write2_b32 v34, v2, v11 offset0:4 offset1:6
	ds_write_b32 v34, v0 offset:48
	s_waitcnt lgkmcnt(0)
	s_barrier
	ds_read2_b32 v[0:1], v23 offset1:14
	ds_read2_b32 v[2:3], v23 offset0:28 offset1:42
	ds_read2_b32 v[11:12], v23 offset0:56 offset1:70
	ds_read_b32 v14, v23 offset:336
	s_movk_i32 s14, 0x40f
	s_waitcnt lgkmcnt(3)
	v_lshrrev_b32_e32 v13, 16, v1
	v_mul_f16_sdwa v22, v4, v13 dst_sel:DWORD dst_unused:UNUSED_PAD src0_sel:WORD_1 src1_sel:DWORD
	s_waitcnt lgkmcnt(2)
	v_lshrrev_b32_e32 v17, 16, v2
	v_fma_f16 v22, v4, v1, v22
	v_mul_f16_sdwa v1, v4, v1 dst_sel:DWORD dst_unused:UNUSED_PAD src0_sel:WORD_1 src1_sel:DWORD
	v_fma_f16 v1, v4, v13, -v1
	v_mul_f16_sdwa v4, v5, v17 dst_sel:DWORD dst_unused:UNUSED_PAD src0_sel:WORD_1 src1_sel:DWORD
	v_lshrrev_b32_e32 v18, 16, v3
	v_fma_f16 v4, v5, v2, v4
	v_mul_f16_sdwa v2, v5, v2 dst_sel:DWORD dst_unused:UNUSED_PAD src0_sel:WORD_1 src1_sel:DWORD
	v_fma_f16 v2, v5, v17, -v2
	v_mul_f16_sdwa v5, v6, v18 dst_sel:DWORD dst_unused:UNUSED_PAD src0_sel:WORD_1 src1_sel:DWORD
	s_waitcnt lgkmcnt(1)
	v_lshrrev_b32_e32 v19, 16, v11
	v_fma_f16 v5, v6, v3, v5
	v_mul_f16_sdwa v3, v6, v3 dst_sel:DWORD dst_unused:UNUSED_PAD src0_sel:WORD_1 src1_sel:DWORD
	v_fma_f16 v3, v6, v18, -v3
	v_mul_f16_sdwa v6, v7, v19 dst_sel:DWORD dst_unused:UNUSED_PAD src0_sel:WORD_1 src1_sel:DWORD
	v_lshrrev_b32_e32 v20, 16, v12
	s_waitcnt lgkmcnt(0)
	v_lshrrev_b32_e32 v21, 16, v14
	v_fma_f16 v6, v7, v11, v6
	v_mul_f16_sdwa v11, v7, v11 dst_sel:DWORD dst_unused:UNUSED_PAD src0_sel:WORD_1 src1_sel:DWORD
	v_fma_f16 v7, v7, v19, -v11
	v_mul_f16_sdwa v11, v15, v20 dst_sel:DWORD dst_unused:UNUSED_PAD src0_sel:WORD_1 src1_sel:DWORD
	v_mul_f16_sdwa v13, v16, v21 dst_sel:DWORD dst_unused:UNUSED_PAD src0_sel:WORD_1 src1_sel:DWORD
	v_fma_f16 v11, v15, v12, v11
	v_mul_f16_sdwa v12, v15, v12 dst_sel:DWORD dst_unused:UNUSED_PAD src0_sel:WORD_1 src1_sel:DWORD
	v_fma_f16 v13, v16, v14, v13
	v_mul_f16_sdwa v14, v16, v14 dst_sel:DWORD dst_unused:UNUSED_PAD src0_sel:WORD_1 src1_sel:DWORD
	v_fma_f16 v12, v15, v20, -v12
	v_fma_f16 v14, v16, v21, -v14
	v_add_f16_e32 v15, v22, v13
	v_add_f16_e32 v16, v1, v14
	v_sub_f16_e32 v1, v1, v14
	v_add_f16_e32 v14, v4, v11
	v_add_f16_e32 v17, v2, v12
	v_sub_f16_e32 v4, v4, v11
	v_sub_f16_e32 v2, v2, v12
	v_add_f16_e32 v11, v5, v6
	v_add_f16_e32 v12, v3, v7
	v_sub_f16_e32 v5, v6, v5
	;; [unrolled: 4-line block ×3, first 2 shown]
	v_sub_f16_e32 v18, v14, v15
	v_sub_f16_e32 v19, v17, v16
	v_sub_f16_e32 v15, v15, v11
	v_sub_f16_e32 v16, v16, v12
	v_sub_f16_e32 v14, v11, v14
	v_sub_f16_e32 v17, v12, v17
	v_add_f16_e32 v20, v5, v4
	v_add_f16_e32 v21, v3, v2
	v_sub_f16_e32 v22, v5, v4
	v_sub_f16_e32 v31, v3, v2
	v_add_f16_e32 v6, v11, v6
	v_add_f16_e32 v7, v12, v7
	v_sub_f16_e32 v5, v13, v5
	v_sub_f16_e32 v3, v1, v3
	;; [unrolled: 1-line block ×4, first 2 shown]
	v_add_f16_e32 v11, v20, v13
	v_add_f16_e32 v1, v21, v1
	;; [unrolled: 1-line block ×3, first 2 shown]
	v_add_f16_sdwa v0, v0, v7 dst_sel:DWORD dst_unused:UNUSED_PAD src0_sel:WORD_1 src1_sel:DWORD
	v_mul_f16_e32 v13, 0x3a52, v15
	v_mul_f16_e32 v15, 0x3a52, v16
	;; [unrolled: 1-line block ×8, first 2 shown]
	v_fma_f16 v6, v6, s2, v12
	v_fma_f16 v7, v7, s2, v0
	;; [unrolled: 1-line block ×4, first 2 shown]
	v_fma_f16 v16, v18, s3, -v16
	v_fma_f16 v20, v19, s3, -v20
	;; [unrolled: 1-line block ×4, first 2 shown]
	v_fma_f16 v18, v5, s5, v21
	v_fma_f16 v19, v3, s5, v22
	v_fma_f16 v4, v4, s1, -v21
	v_fma_f16 v2, v2, s1, -v22
	;; [unrolled: 1-line block ×4, first 2 shown]
	v_add_f16_e32 v14, v14, v6
	v_add_f16_e32 v17, v17, v7
	;; [unrolled: 1-line block ×6, first 2 shown]
	v_fma_f16 v13, v11, s13, v18
	v_fma_f16 v15, v1, s13, v19
	;; [unrolled: 1-line block ×6, first 2 shown]
	v_add_f16_e32 v3, v15, v14
	v_sub_f16_e32 v11, v17, v13
	v_add_f16_e32 v18, v1, v6
	v_sub_f16_e32 v19, v7, v5
	v_sub_f16_e32 v21, v16, v2
	v_add_f16_e32 v22, v4, v20
	v_pack_b32_f16 v0, v12, v0
	v_pack_b32_f16 v3, v3, v11
	v_add_f16_e32 v2, v2, v16
	v_sub_f16_e32 v4, v20, v4
	v_sub_f16_e32 v1, v6, v1
	v_add_f16_e32 v5, v5, v7
	ds_write2_b32 v23, v0, v3 offset1:14
	v_pack_b32_f16 v0, v18, v19
	v_pack_b32_f16 v3, v21, v22
	v_sub_f16_e32 v6, v14, v15
	v_add_f16_e32 v7, v13, v17
	ds_write2_b32 v23, v0, v3 offset0:28 offset1:42
	v_pack_b32_f16 v0, v2, v4
	v_pack_b32_f16 v1, v1, v5
	ds_write2_b32 v23, v0, v1 offset0:56 offset1:70
	v_pack_b32_f16 v0, v6, v7
	ds_write_b32 v23, v0 offset:336
	s_waitcnt lgkmcnt(0)
	s_barrier
	ds_read2_b32 v[0:1], v23 offset1:14
	s_mov_b32 s12, 0xa72f0539
	s_mov_b32 s13, 0x3f84e5e0
	v_mad_u64_u32 v[3:4], s[0:1], s10, v10, 0
	s_waitcnt lgkmcnt(0)
	v_lshrrev_b32_e32 v7, 16, v0
	v_mul_f16_sdwa v2, v30, v7 dst_sel:DWORD dst_unused:UNUSED_PAD src0_sel:WORD_1 src1_sel:DWORD
	v_fma_f16 v2, v30, v0, v2
	v_cvt_f32_f16_e32 v2, v2
	s_movk_i32 s10, 0x1ff
	v_mul_f16_sdwa v0, v30, v0 dst_sel:DWORD dst_unused:UNUSED_PAD src0_sel:WORD_1 src1_sel:DWORD
	v_fma_f16 v0, v30, v7, -v0
	v_cvt_f64_f32_e32 v[5:6], v2
	v_mov_b32_e32 v2, v4
	v_mad_u64_u32 v[10:11], s[0:1], s11, v10, v[2:3]
	v_mul_f64 v[5:6], v[5:6], s[12:13]
	s_movk_i32 s11, 0xffe
	v_mov_b32_e32 v4, v10
	v_cvt_f32_f16_e32 v0, v0
	s_mov_b32 s15, 0x8000
	v_lshlrev_b64 v[3:4], 2, v[3:4]
	v_and_or_b32 v2, v6, s10, v5
	v_cmp_ne_u32_e64 s[0:1], 0, v2
	v_cndmask_b32_e64 v2, 0, 1, s[0:1]
	v_lshrrev_b32_e32 v5, 8, v6
	v_bfe_u32 v10, v6, 20, 11
	v_and_or_b32 v5, v5, s11, v2
	v_sub_u32_e32 v11, 0x3f1, v10
	v_or_b32_e32 v2, 0x1000, v5
	v_med3_i32 v11, v11, 0, 13
	v_lshrrev_b32_e32 v12, v11, v2
	v_lshlrev_b32_e32 v11, v11, v12
	v_cmp_ne_u32_e64 s[0:1], v11, v2
	v_cndmask_b32_e64 v2, 0, 1, s[0:1]
	v_or_b32_e32 v2, v12, v2
	v_add_u32_e32 v12, 0xfffffc10, v10
	v_lshl_or_b32 v10, v12, 12, v5
	v_cmp_gt_i32_e64 s[0:1], 1, v12
	v_cndmask_b32_e64 v2, v10, v2, s[0:1]
	v_and_b32_e32 v10, 7, v2
	v_cmp_lt_i32_e64 s[0:1], 5, v10
	v_cmp_eq_u32_e64 s[2:3], 3, v10
	v_cvt_f64_f32_e32 v[10:11], v0
	v_lshrrev_b32_e32 v2, 2, v2
	s_or_b64 s[0:1], s[2:3], s[0:1]
	v_addc_co_u32_e64 v7, s[0:1], 0, v2, s[0:1]
	v_mul_f64 v[10:11], v[10:11], s[12:13]
	v_mov_b32_e32 v2, 0x7c00
	v_cmp_gt_i32_e64 s[0:1], 31, v12
	v_cndmask_b32_e64 v0, v2, v7, s[0:1]
	v_cmp_ne_u32_e64 s[0:1], 0, v5
	v_cndmask_b32_e64 v5, 0, 1, s[0:1]
	v_lshl_or_b32 v5, v5, 9, v2
	v_cmp_eq_u32_e64 s[0:1], s14, v12
	v_cndmask_b32_e64 v0, v0, v5, s[0:1]
	v_lshrrev_b32_e32 v5, 16, v6
	v_and_or_b32 v14, v5, s15, v0
	v_and_or_b32 v0, v11, s10, v10
	v_cmp_ne_u32_e64 s[0:1], 0, v0
	v_cndmask_b32_e64 v0, 0, 1, s[0:1]
	v_lshrrev_b32_e32 v5, 8, v11
	v_bfe_u32 v6, v11, 20, 11
	v_and_or_b32 v0, v5, s11, v0
	v_sub_u32_e32 v7, 0x3f1, v6
	v_or_b32_e32 v5, 0x1000, v0
	v_med3_i32 v7, v7, 0, 13
	v_lshrrev_b32_e32 v10, v7, v5
	v_lshlrev_b32_e32 v7, v7, v10
	v_cmp_ne_u32_e64 s[0:1], v7, v5
	v_cndmask_b32_e64 v5, 0, 1, s[0:1]
	v_add_u32_e32 v7, 0xfffffc10, v6
	v_or_b32_e32 v5, v10, v5
	v_lshl_or_b32 v6, v7, 12, v0
	v_cmp_gt_i32_e64 s[0:1], 1, v7
	v_cndmask_b32_e64 v5, v6, v5, s[0:1]
	v_and_b32_e32 v6, 7, v5
	v_cmp_lt_i32_e64 s[0:1], 5, v6
	v_cmp_eq_u32_e64 s[2:3], 3, v6
	v_lshrrev_b32_e32 v5, 2, v5
	s_or_b64 s[0:1], s[2:3], s[0:1]
	v_addc_co_u32_e64 v5, s[0:1], 0, v5, s[0:1]
	v_cmp_gt_i32_e64 s[0:1], 31, v7
	v_cndmask_b32_e64 v10, v2, v5, s[0:1]
	v_cmp_ne_u32_e64 s[0:1], 0, v0
	v_cndmask_b32_e64 v0, 0, 1, s[0:1]
	v_mad_u64_u32 v[5:6], s[0:1], s8, v29, 0
	ds_read2_b32 v[12:13], v23 offset0:28 offset1:49
	v_lshl_or_b32 v0, v0, 9, v2
	v_cmp_eq_u32_e64 s[0:1], s14, v7
	v_cndmask_b32_e64 v10, v10, v0, s[0:1]
	v_mov_b32_e32 v0, v6
	v_mad_u64_u32 v[6:7], s[0:1], s9, v29, v[0:1]
	s_waitcnt lgkmcnt(0)
	v_lshrrev_b32_e32 v0, 16, v13
	v_mul_f16_sdwa v7, v28, v0 dst_sel:DWORD dst_unused:UNUSED_PAD src0_sel:WORD_1 src1_sel:DWORD
	v_fma_f16 v7, v28, v13, v7
	v_cvt_f32_f16_e32 v7, v7
	v_lshrrev_b32_e32 v11, 16, v11
	v_and_or_b32 v15, v11, s15, v10
	v_and_b32_e32 v14, 0xffff, v14
	v_cvt_f64_f32_e32 v[10:11], v7
	v_lshl_or_b32 v7, v15, 16, v14
	v_mov_b32_e32 v14, s7
	v_add_co_u32_e64 v15, s[0:1], s6, v3
	v_mul_f64 v[10:11], v[10:11], s[12:13]
	v_addc_co_u32_e64 v14, s[0:1], v14, v4, s[0:1]
	v_lshlrev_b64 v[3:4], 2, v[5:6]
	v_mul_f16_sdwa v13, v28, v13 dst_sel:DWORD dst_unused:UNUSED_PAD src0_sel:WORD_1 src1_sel:DWORD
	v_add_co_u32_e64 v3, s[0:1], v15, v3
	v_addc_co_u32_e64 v4, s[0:1], v14, v4, s[0:1]
	v_and_or_b32 v5, v11, s10, v10
	v_cmp_ne_u32_e64 s[0:1], 0, v5
	v_cndmask_b32_e64 v5, 0, 1, s[0:1]
	v_lshrrev_b32_e32 v6, 8, v11
	global_store_dword v[3:4], v7, off
	v_and_or_b32 v7, v6, s11, v5
	v_bfe_u32 v6, v11, 20, 11
	v_sub_u32_e32 v10, 0x3f1, v6
	v_or_b32_e32 v5, 0x1000, v7
	v_med3_i32 v10, v10, 0, 13
	v_lshrrev_b32_e32 v14, v10, v5
	v_lshlrev_b32_e32 v10, v10, v14
	v_cmp_ne_u32_e64 s[0:1], v10, v5
	v_fma_f16 v0, v28, v0, -v13
	v_cndmask_b32_e64 v5, 0, 1, s[0:1]
	v_add_u32_e32 v10, 0xfffffc10, v6
	v_cvt_f32_f16_e32 v0, v0
	v_or_b32_e32 v5, v14, v5
	v_lshl_or_b32 v6, v10, 12, v7
	v_cmp_gt_i32_e64 s[0:1], 1, v10
	v_cndmask_b32_e64 v5, v6, v5, s[0:1]
	v_and_b32_e32 v6, 7, v5
	v_cmp_lt_i32_e64 s[0:1], 5, v6
	v_cmp_eq_u32_e64 s[2:3], 3, v6
	v_lshrrev_b32_e32 v13, 2, v5
	v_cvt_f64_f32_e32 v[5:6], v0
	s_or_b64 s[0:1], s[2:3], s[0:1]
	v_addc_co_u32_e64 v0, s[0:1], 0, v13, s[0:1]
	v_mul_f64 v[5:6], v[5:6], s[12:13]
	v_cmp_gt_i32_e64 s[0:1], 31, v10
	v_cndmask_b32_e64 v0, v2, v0, s[0:1]
	v_cmp_ne_u32_e64 s[0:1], 0, v7
	v_cndmask_b32_e64 v7, 0, 1, s[0:1]
	v_lshl_or_b32 v7, v7, 9, v2
	v_cmp_eq_u32_e64 s[0:1], s14, v10
	v_cndmask_b32_e64 v0, v0, v7, s[0:1]
	v_and_or_b32 v5, v6, s10, v5
	v_lshrrev_b32_e32 v7, 16, v11
	v_cmp_ne_u32_e64 s[0:1], 0, v5
	v_and_or_b32 v0, v7, s15, v0
	v_cndmask_b32_e64 v5, 0, 1, s[0:1]
	v_lshrrev_b32_e32 v7, 8, v6
	v_bfe_u32 v10, v6, 20, 11
	v_and_or_b32 v5, v7, s11, v5
	v_sub_u32_e32 v11, 0x3f1, v10
	v_or_b32_e32 v7, 0x1000, v5
	v_med3_i32 v11, v11, 0, 13
	v_lshrrev_b32_e32 v13, v11, v7
	v_lshlrev_b32_e32 v11, v11, v13
	v_cmp_ne_u32_e64 s[0:1], v11, v7
	v_cndmask_b32_e64 v7, 0, 1, s[0:1]
	v_add_u32_e32 v10, 0xfffffc10, v10
	v_or_b32_e32 v7, v13, v7
	v_lshl_or_b32 v11, v10, 12, v5
	v_cmp_gt_i32_e64 s[0:1], 1, v10
	v_cndmask_b32_e64 v7, v11, v7, s[0:1]
	v_and_b32_e32 v11, 7, v7
	v_cmp_lt_i32_e64 s[0:1], 5, v11
	v_cmp_eq_u32_e64 s[2:3], 3, v11
	v_lshrrev_b32_e32 v7, 2, v7
	s_or_b64 s[0:1], s[2:3], s[0:1]
	v_addc_co_u32_e64 v7, s[0:1], 0, v7, s[0:1]
	v_cmp_gt_i32_e64 s[0:1], 31, v10
	v_cndmask_b32_e64 v7, v2, v7, s[0:1]
	v_cmp_ne_u32_e64 s[0:1], 0, v5
	v_cndmask_b32_e64 v5, 0, 1, s[0:1]
	v_lshl_or_b32 v5, v5, 9, v2
	v_cmp_eq_u32_e64 s[0:1], s14, v10
	v_cndmask_b32_e64 v5, v7, v5, s[0:1]
	v_lshrrev_b32_e32 v6, 16, v6
	v_lshrrev_b32_e32 v10, 16, v1
	v_and_or_b32 v7, v6, s15, v5
	v_mul_f16_sdwa v5, v27, v10 dst_sel:DWORD dst_unused:UNUSED_PAD src0_sel:WORD_1 src1_sel:DWORD
	v_fma_f16 v5, v27, v1, v5
	v_cvt_f32_f16_e32 v5, v5
	s_mul_i32 s0, s9, 49
	s_mul_hi_u32 s1, s8, 49
	s_add_i32 s1, s1, s0
	v_cvt_f64_f32_e32 v[5:6], v5
	s_mul_i32 s0, s8, 49
	v_and_b32_e32 v0, 0xffff, v0
	s_lshl_b64 s[6:7], s[0:1], 2
	v_mul_f64 v[5:6], v[5:6], s[12:13]
	v_lshl_or_b32 v0, v7, 16, v0
	v_mov_b32_e32 v7, s7
	v_add_co_u32_e64 v3, s[0:1], s6, v3
	v_addc_co_u32_e64 v4, s[0:1], v4, v7, s[0:1]
	global_store_dword v[3:4], v0, off
	v_and_or_b32 v0, v6, s10, v5
	v_cmp_ne_u32_e64 s[0:1], 0, v0
	v_cndmask_b32_e64 v0, 0, 1, s[0:1]
	v_lshrrev_b32_e32 v5, 8, v6
	v_bfe_u32 v11, v6, 20, 11
	v_and_or_b32 v5, v5, s11, v0
	v_sub_u32_e32 v13, 0x3f1, v11
	v_or_b32_e32 v0, 0x1000, v5
	v_med3_i32 v13, v13, 0, 13
	v_lshrrev_b32_e32 v14, v13, v0
	v_mul_f16_sdwa v1, v27, v1 dst_sel:DWORD dst_unused:UNUSED_PAD src0_sel:WORD_1 src1_sel:DWORD
	v_lshlrev_b32_e32 v13, v13, v14
	v_fma_f16 v1, v27, v10, -v1
	v_cmp_ne_u32_e64 s[0:1], v13, v0
	v_cvt_f32_f16_e32 v1, v1
	v_cndmask_b32_e64 v0, 0, 1, s[0:1]
	v_add_u32_e32 v11, 0xfffffc10, v11
	v_or_b32_e32 v0, v14, v0
	v_lshl_or_b32 v13, v11, 12, v5
	v_cmp_gt_i32_e64 s[0:1], 1, v11
	v_cndmask_b32_e64 v0, v13, v0, s[0:1]
	v_and_b32_e32 v13, 7, v0
	v_lshrrev_b32_e32 v10, 2, v0
	v_cvt_f64_f32_e32 v[0:1], v1
	v_cmp_lt_i32_e64 s[0:1], 5, v13
	v_cmp_eq_u32_e64 s[2:3], 3, v13
	s_or_b64 s[0:1], s[2:3], s[0:1]
	v_mul_f64 v[0:1], v[0:1], s[12:13]
	v_addc_co_u32_e64 v10, s[0:1], 0, v10, s[0:1]
	v_cmp_gt_i32_e64 s[0:1], 31, v11
	v_cndmask_b32_e64 v10, v2, v10, s[0:1]
	v_cmp_ne_u32_e64 s[0:1], 0, v5
	v_cndmask_b32_e64 v5, 0, 1, s[0:1]
	v_lshl_or_b32 v5, v5, 9, v2
	v_cmp_eq_u32_e64 s[0:1], s14, v11
	v_and_or_b32 v0, v1, s10, v0
	v_cndmask_b32_e64 v5, v10, v5, s[0:1]
	v_lshrrev_b32_e32 v6, 16, v6
	v_cmp_ne_u32_e64 s[0:1], 0, v0
	v_and_or_b32 v10, v6, s15, v5
	v_cndmask_b32_e64 v0, 0, 1, s[0:1]
	v_lshrrev_b32_e32 v5, 8, v1
	v_bfe_u32 v6, v1, 20, 11
	v_and_or_b32 v0, v5, s11, v0
	v_sub_u32_e32 v11, 0x3f1, v6
	v_or_b32_e32 v5, 0x1000, v0
	v_med3_i32 v11, v11, 0, 13
	v_lshrrev_b32_e32 v13, v11, v5
	v_lshlrev_b32_e32 v11, v11, v13
	v_cmp_ne_u32_e64 s[0:1], v11, v5
	v_cndmask_b32_e64 v5, 0, 1, s[0:1]
	v_add_u32_e32 v11, 0xfffffc10, v6
	v_or_b32_e32 v5, v13, v5
	v_lshl_or_b32 v6, v11, 12, v0
	v_cmp_gt_i32_e64 s[0:1], 1, v11
	v_cndmask_b32_e64 v5, v6, v5, s[0:1]
	v_and_b32_e32 v6, 7, v5
	v_cmp_lt_i32_e64 s[0:1], 5, v6
	v_cmp_eq_u32_e64 s[2:3], 3, v6
	v_lshrrev_b32_e32 v5, 2, v5
	s_or_b64 s[0:1], s[2:3], s[0:1]
	v_addc_co_u32_e64 v5, s[0:1], 0, v5, s[0:1]
	v_cmp_gt_i32_e64 s[0:1], 31, v11
	v_cndmask_b32_e64 v13, v2, v5, s[0:1]
	ds_read2_b32 v[5:6], v23 offset0:63 offset1:77
	v_cmp_ne_u32_e64 s[0:1], 0, v0
	v_cndmask_b32_e64 v0, 0, 1, s[0:1]
	v_lshl_or_b32 v0, v0, 9, v2
	v_cmp_eq_u32_e64 s[0:1], s14, v11
	v_cndmask_b32_e64 v0, v13, v0, s[0:1]
	v_lshrrev_b32_e32 v1, 16, v1
	s_waitcnt lgkmcnt(0)
	v_lshrrev_b32_e32 v13, 16, v5
	v_and_or_b32 v11, v1, s15, v0
	v_mul_f16_sdwa v0, v26, v13 dst_sel:DWORD dst_unused:UNUSED_PAD src0_sel:WORD_1 src1_sel:DWORD
	v_fma_f16 v0, v26, v5, v0
	v_cvt_f32_f16_e32 v0, v0
	s_mul_hi_u32 s1, s8, 0xffffffdd
	s_mul_i32 s0, s9, 0xffffffdd
	s_sub_i32 s1, s1, s8
	v_cvt_f64_f32_e32 v[0:1], v0
	s_add_i32 s1, s1, s0
	s_mul_i32 s0, s8, 0xffffffdd
	s_lshl_b64 s[4:5], s[0:1], 2
	v_mul_f64 v[0:1], v[0:1], s[12:13]
	v_mov_b32_e32 v14, s5
	v_add_co_u32_e64 v3, s[0:1], s4, v3
	v_and_b32_e32 v10, 0xffff, v10
	v_addc_co_u32_e64 v4, s[0:1], v4, v14, s[0:1]
	v_lshl_or_b32 v10, v11, 16, v10
	v_and_or_b32 v0, v1, s10, v0
	v_cmp_ne_u32_e64 s[0:1], 0, v0
	global_store_dword v[3:4], v10, off
	v_cndmask_b32_e64 v0, 0, 1, s[0:1]
	v_lshrrev_b32_e32 v10, 8, v1
	v_bfe_u32 v11, v1, 20, 11
	v_and_or_b32 v0, v10, s11, v0
	v_sub_u32_e32 v15, 0x3f1, v11
	v_or_b32_e32 v10, 0x1000, v0
	v_med3_i32 v15, v15, 0, 13
	v_lshrrev_b32_e32 v16, v15, v10
	v_lshlrev_b32_e32 v15, v15, v16
	v_mul_f16_sdwa v5, v26, v5 dst_sel:DWORD dst_unused:UNUSED_PAD src0_sel:WORD_1 src1_sel:DWORD
	v_cmp_ne_u32_e64 s[0:1], v15, v10
	v_fma_f16 v5, v26, v13, -v5
	v_cndmask_b32_e64 v10, 0, 1, s[0:1]
	v_add_u32_e32 v15, 0xfffffc10, v11
	v_cvt_f32_f16_e32 v5, v5
	v_or_b32_e32 v10, v16, v10
	v_lshl_or_b32 v11, v15, 12, v0
	v_cmp_gt_i32_e64 s[0:1], 1, v15
	v_cndmask_b32_e64 v10, v11, v10, s[0:1]
	v_and_b32_e32 v11, 7, v10
	v_cmp_lt_i32_e64 s[0:1], 5, v11
	v_cmp_eq_u32_e64 s[2:3], 3, v11
	v_lshrrev_b32_e32 v13, 2, v10
	v_cvt_f64_f32_e32 v[10:11], v5
	s_or_b64 s[0:1], s[2:3], s[0:1]
	v_addc_co_u32_e64 v5, s[0:1], 0, v13, s[0:1]
	v_mul_f64 v[10:11], v[10:11], s[12:13]
	v_cmp_gt_i32_e64 s[0:1], 31, v15
	v_cndmask_b32_e64 v5, v2, v5, s[0:1]
	v_cmp_ne_u32_e64 s[0:1], 0, v0
	v_cndmask_b32_e64 v0, 0, 1, s[0:1]
	v_lshl_or_b32 v0, v0, 9, v2
	v_cmp_eq_u32_e64 s[0:1], s14, v15
	v_cndmask_b32_e64 v0, v5, v0, s[0:1]
	v_lshrrev_b32_e32 v1, 16, v1
	v_and_or_b32 v5, v1, s15, v0
	v_and_or_b32 v0, v11, s10, v10
	v_cmp_ne_u32_e64 s[0:1], 0, v0
	v_cndmask_b32_e64 v0, 0, 1, s[0:1]
	v_lshrrev_b32_e32 v1, 8, v11
	v_bfe_u32 v10, v11, 20, 11
	v_and_or_b32 v0, v1, s11, v0
	v_sub_u32_e32 v13, 0x3f1, v10
	v_or_b32_e32 v1, 0x1000, v0
	v_med3_i32 v13, v13, 0, 13
	v_lshrrev_b32_e32 v15, v13, v1
	v_lshlrev_b32_e32 v13, v13, v15
	v_cmp_ne_u32_e64 s[0:1], v13, v1
	v_cndmask_b32_e64 v1, 0, 1, s[0:1]
	v_add_u32_e32 v10, 0xfffffc10, v10
	v_or_b32_e32 v1, v15, v1
	v_lshl_or_b32 v13, v10, 12, v0
	v_cmp_gt_i32_e64 s[0:1], 1, v10
	v_cndmask_b32_e64 v1, v13, v1, s[0:1]
	v_and_b32_e32 v13, 7, v1
	v_cmp_lt_i32_e64 s[0:1], 5, v13
	v_cmp_eq_u32_e64 s[2:3], 3, v13
	v_lshrrev_b32_e32 v1, 2, v1
	s_or_b64 s[0:1], s[2:3], s[0:1]
	v_addc_co_u32_e64 v1, s[0:1], 0, v1, s[0:1]
	v_cmp_gt_i32_e64 s[0:1], 31, v10
	v_lshrrev_b32_e32 v15, 16, v12
	v_cndmask_b32_e64 v13, v2, v1, s[0:1]
	v_mul_f16_sdwa v1, v25, v15 dst_sel:DWORD dst_unused:UNUSED_PAD src0_sel:WORD_1 src1_sel:DWORD
	v_fma_f16 v1, v25, v12, v1
	v_cvt_f32_f16_e32 v1, v1
	v_cmp_ne_u32_e64 s[0:1], 0, v0
	v_cndmask_b32_e64 v0, 0, 1, s[0:1]
	v_lshl_or_b32 v16, v0, 9, v2
	v_cvt_f64_f32_e32 v[0:1], v1
	v_cmp_eq_u32_e64 s[0:1], s14, v10
	v_cndmask_b32_e64 v10, v13, v16, s[0:1]
	v_lshrrev_b32_e32 v11, 16, v11
	v_mul_f64 v[0:1], v[0:1], s[12:13]
	v_add_co_u32_e64 v3, s[0:1], s6, v3
	v_and_or_b32 v10, v11, s15, v10
	v_and_b32_e32 v5, 0xffff, v5
	v_addc_co_u32_e64 v4, s[0:1], v4, v7, s[0:1]
	v_lshl_or_b32 v5, v10, 16, v5
	v_and_or_b32 v0, v1, s10, v0
	v_cmp_ne_u32_e64 s[0:1], 0, v0
	global_store_dword v[3:4], v5, off
	v_cndmask_b32_e64 v0, 0, 1, s[0:1]
	v_lshrrev_b32_e32 v5, 8, v1
	v_bfe_u32 v10, v1, 20, 11
	v_and_or_b32 v0, v5, s11, v0
	v_sub_u32_e32 v11, 0x3f1, v10
	v_or_b32_e32 v5, 0x1000, v0
	v_med3_i32 v11, v11, 0, 13
	v_lshrrev_b32_e32 v13, v11, v5
	v_lshlrev_b32_e32 v11, v11, v13
	v_cmp_ne_u32_e64 s[0:1], v11, v5
	v_mul_f16_sdwa v11, v25, v12 dst_sel:DWORD dst_unused:UNUSED_PAD src0_sel:WORD_1 src1_sel:DWORD
	v_cndmask_b32_e64 v5, 0, 1, s[0:1]
	v_fma_f16 v11, v25, v15, -v11
	v_or_b32_e32 v5, v13, v5
	v_add_u32_e32 v13, 0xfffffc10, v10
	v_cvt_f32_f16_e32 v11, v11
	v_lshl_or_b32 v10, v13, 12, v0
	v_cmp_gt_i32_e64 s[0:1], 1, v13
	v_cndmask_b32_e64 v5, v10, v5, s[0:1]
	v_and_b32_e32 v10, 7, v5
	v_cmp_lt_i32_e64 s[0:1], 5, v10
	v_cmp_eq_u32_e64 s[2:3], 3, v10
	v_cvt_f64_f32_e32 v[10:11], v11
	v_lshrrev_b32_e32 v5, 2, v5
	s_or_b64 s[0:1], s[2:3], s[0:1]
	v_addc_co_u32_e64 v5, s[0:1], 0, v5, s[0:1]
	v_mul_f64 v[10:11], v[10:11], s[12:13]
	v_cmp_gt_i32_e64 s[0:1], 31, v13
	v_cndmask_b32_e64 v5, v2, v5, s[0:1]
	v_cmp_ne_u32_e64 s[0:1], 0, v0
	v_cndmask_b32_e64 v0, 0, 1, s[0:1]
	v_lshl_or_b32 v0, v0, 9, v2
	v_cmp_eq_u32_e64 s[0:1], s14, v13
	v_cndmask_b32_e64 v0, v5, v0, s[0:1]
	v_lshrrev_b32_e32 v1, 16, v1
	v_and_or_b32 v5, v1, s15, v0
	v_and_or_b32 v0, v11, s10, v10
	v_cmp_ne_u32_e64 s[0:1], 0, v0
	v_cndmask_b32_e64 v0, 0, 1, s[0:1]
	v_lshrrev_b32_e32 v1, 8, v11
	v_bfe_u32 v10, v11, 20, 11
	v_and_or_b32 v0, v1, s11, v0
	v_sub_u32_e32 v12, 0x3f1, v10
	v_or_b32_e32 v1, 0x1000, v0
	v_med3_i32 v12, v12, 0, 13
	v_lshrrev_b32_e32 v13, v12, v1
	v_lshlrev_b32_e32 v12, v12, v13
	v_cmp_ne_u32_e64 s[0:1], v12, v1
	v_cndmask_b32_e64 v1, 0, 1, s[0:1]
	v_add_u32_e32 v10, 0xfffffc10, v10
	v_or_b32_e32 v1, v13, v1
	v_lshl_or_b32 v12, v10, 12, v0
	v_cmp_gt_i32_e64 s[0:1], 1, v10
	v_cndmask_b32_e64 v1, v12, v1, s[0:1]
	v_and_b32_e32 v12, 7, v1
	v_cmp_lt_i32_e64 s[0:1], 5, v12
	v_cmp_eq_u32_e64 s[2:3], 3, v12
	v_lshrrev_b32_e32 v1, 2, v1
	s_or_b64 s[0:1], s[2:3], s[0:1]
	v_addc_co_u32_e64 v1, s[0:1], 0, v1, s[0:1]
	v_cmp_gt_i32_e64 s[0:1], 31, v10
	v_lshrrev_b32_e32 v13, 16, v6
	v_cndmask_b32_e64 v12, v2, v1, s[0:1]
	v_mul_f16_sdwa v1, v24, v13 dst_sel:DWORD dst_unused:UNUSED_PAD src0_sel:WORD_1 src1_sel:DWORD
	v_fma_f16 v1, v24, v6, v1
	v_cvt_f32_f16_e32 v1, v1
	v_cmp_ne_u32_e64 s[0:1], 0, v0
	v_cndmask_b32_e64 v0, 0, 1, s[0:1]
	v_lshl_or_b32 v15, v0, 9, v2
	v_cvt_f64_f32_e32 v[0:1], v1
	v_cmp_eq_u32_e64 s[0:1], s14, v10
	v_cndmask_b32_e64 v10, v12, v15, s[0:1]
	v_lshrrev_b32_e32 v11, 16, v11
	v_mul_f64 v[0:1], v[0:1], s[12:13]
	v_add_co_u32_e64 v3, s[0:1], s4, v3
	v_and_or_b32 v10, v11, s15, v10
	v_and_b32_e32 v5, 0xffff, v5
	v_addc_co_u32_e64 v4, s[0:1], v4, v14, s[0:1]
	v_lshl_or_b32 v5, v10, 16, v5
	v_and_or_b32 v0, v1, s10, v0
	v_cmp_ne_u32_e64 s[0:1], 0, v0
	global_store_dword v[3:4], v5, off
	v_cndmask_b32_e64 v0, 0, 1, s[0:1]
	v_lshrrev_b32_e32 v5, 8, v1
	v_bfe_u32 v10, v1, 20, 11
	v_and_or_b32 v0, v5, s11, v0
	v_sub_u32_e32 v11, 0x3f1, v10
	v_or_b32_e32 v5, 0x1000, v0
	v_med3_i32 v11, v11, 0, 13
	v_lshrrev_b32_e32 v12, v11, v5
	v_lshlrev_b32_e32 v11, v11, v12
	v_mul_f16_sdwa v6, v24, v6 dst_sel:DWORD dst_unused:UNUSED_PAD src0_sel:WORD_1 src1_sel:DWORD
	v_cmp_ne_u32_e64 s[0:1], v11, v5
	v_fma_f16 v6, v24, v13, -v6
	v_cndmask_b32_e64 v5, 0, 1, s[0:1]
	v_add_u32_e32 v10, 0xfffffc10, v10
	v_cvt_f32_f16_e32 v6, v6
	v_or_b32_e32 v5, v12, v5
	v_lshl_or_b32 v11, v10, 12, v0
	v_cmp_gt_i32_e64 s[0:1], 1, v10
	v_cndmask_b32_e64 v5, v11, v5, s[0:1]
	v_and_b32_e32 v11, 7, v5
	v_cmp_lt_i32_e64 s[0:1], 5, v11
	v_cmp_eq_u32_e64 s[2:3], 3, v11
	v_lshrrev_b32_e32 v11, 2, v5
	v_cvt_f64_f32_e32 v[5:6], v6
	s_or_b64 s[0:1], s[2:3], s[0:1]
	v_addc_co_u32_e64 v11, s[0:1], 0, v11, s[0:1]
	v_mul_f64 v[5:6], v[5:6], s[12:13]
	v_cmp_gt_i32_e64 s[0:1], 31, v10
	v_cndmask_b32_e64 v11, v2, v11, s[0:1]
	v_cmp_ne_u32_e64 s[0:1], 0, v0
	v_cndmask_b32_e64 v0, 0, 1, s[0:1]
	v_lshl_or_b32 v0, v0, 9, v2
	v_cmp_eq_u32_e64 s[0:1], s14, v10
	v_cndmask_b32_e64 v0, v11, v0, s[0:1]
	v_lshrrev_b32_e32 v1, 16, v1
	v_and_or_b32 v0, v1, s15, v0
	v_and_or_b32 v1, v6, s10, v5
	v_cmp_ne_u32_e64 s[0:1], 0, v1
	v_cndmask_b32_e64 v1, 0, 1, s[0:1]
	v_lshrrev_b32_e32 v5, 8, v6
	v_bfe_u32 v10, v6, 20, 11
	v_and_or_b32 v1, v5, s11, v1
	v_sub_u32_e32 v11, 0x3f1, v10
	v_or_b32_e32 v5, 0x1000, v1
	v_med3_i32 v11, v11, 0, 13
	v_lshrrev_b32_e32 v12, v11, v5
	v_lshlrev_b32_e32 v11, v11, v12
	v_cmp_ne_u32_e64 s[0:1], v11, v5
	v_cndmask_b32_e64 v5, 0, 1, s[0:1]
	v_add_u32_e32 v10, 0xfffffc10, v10
	v_or_b32_e32 v5, v12, v5
	v_lshl_or_b32 v11, v10, 12, v1
	v_cmp_gt_i32_e64 s[0:1], 1, v10
	v_cndmask_b32_e64 v5, v11, v5, s[0:1]
	v_and_b32_e32 v11, 7, v5
	v_cmp_lt_i32_e64 s[0:1], 5, v11
	v_cmp_eq_u32_e64 s[2:3], 3, v11
	v_lshrrev_b32_e32 v5, 2, v5
	s_or_b64 s[0:1], s[2:3], s[0:1]
	v_addc_co_u32_e64 v5, s[0:1], 0, v5, s[0:1]
	v_cmp_gt_i32_e64 s[0:1], 31, v10
	v_cndmask_b32_e64 v5, v2, v5, s[0:1]
	v_cmp_ne_u32_e64 s[0:1], 0, v1
	v_cndmask_b32_e64 v1, 0, 1, s[0:1]
	v_lshl_or_b32 v1, v1, 9, v2
	v_cmp_eq_u32_e64 s[0:1], s14, v10
	v_cndmask_b32_e64 v1, v5, v1, s[0:1]
	v_lshrrev_b32_e32 v5, 16, v6
	v_and_or_b32 v1, v5, s15, v1
	v_and_b32_e32 v0, 0xffff, v0
	v_lshl_or_b32 v5, v1, 16, v0
	v_add_co_u32_e64 v0, s[0:1], s6, v3
	v_addc_co_u32_e64 v1, s[0:1], v4, v7, s[0:1]
	global_store_dword v[0:1], v5, off
	s_and_b64 exec, exec, vcc
	s_cbranch_execz .LBB0_15
; %bb.14:
	global_load_dword v5, v[8:9], off offset:168
	global_load_dword v11, v[8:9], off offset:364
	ds_read2_b32 v[3:4], v23 offset0:42 offset1:91
	v_add_co_u32_e32 v0, vcc, s4, v0
	s_waitcnt lgkmcnt(0)
	v_lshrrev_b32_e32 v6, 16, v3
	v_lshrrev_b32_e32 v12, 16, v4
	s_waitcnt vmcnt(1)
	v_mul_f16_sdwa v7, v6, v5 dst_sel:DWORD dst_unused:UNUSED_PAD src0_sel:DWORD src1_sel:WORD_1
	v_mul_f16_sdwa v8, v3, v5 dst_sel:DWORD dst_unused:UNUSED_PAD src0_sel:DWORD src1_sel:WORD_1
	v_fma_f16 v3, v3, v5, v7
	s_waitcnt vmcnt(0)
	v_mul_f16_sdwa v9, v12, v11 dst_sel:DWORD dst_unused:UNUSED_PAD src0_sel:DWORD src1_sel:WORD_1
	v_fma_f16 v5, v5, v6, -v8
	v_cvt_f32_f16_e32 v3, v3
	v_cvt_f32_f16_e32 v7, v5
	v_fma_f16 v5, v4, v11, v9
	v_cvt_f32_f16_e32 v9, v5
	v_cvt_f64_f32_e32 v[5:6], v3
	v_cvt_f64_f32_e32 v[7:8], v7
	v_mov_b32_e32 v3, s5
	v_cvt_f64_f32_e32 v[9:10], v9
	v_mul_f64 v[5:6], v[5:6], s[12:13]
	v_mul_f64 v[7:8], v[7:8], s[12:13]
	v_addc_co_u32_e32 v1, vcc, v1, v3, vcc
	v_mul_f16_sdwa v13, v4, v11 dst_sel:DWORD dst_unused:UNUSED_PAD src0_sel:DWORD src1_sel:WORD_1
	v_mul_f64 v[3:4], v[9:10], s[12:13]
	v_and_or_b32 v5, v6, s10, v5
	v_and_or_b32 v7, v8, s10, v7
	v_cmp_ne_u32_e32 vcc, 0, v5
	v_lshrrev_b32_e32 v9, 8, v6
	v_bfe_u32 v10, v6, 20, 11
	v_and_or_b32 v3, v4, s10, v3
	v_cndmask_b32_e64 v5, 0, 1, vcc
	v_cmp_ne_u32_e32 vcc, 0, v7
	v_lshrrev_b32_e32 v14, 8, v8
	v_bfe_u32 v15, v8, 20, 11
	v_bfe_u32 v17, v4, 20, 11
	v_sub_u32_e32 v18, 0x3f1, v10
	v_cndmask_b32_e64 v7, 0, 1, vcc
	v_cmp_ne_u32_e32 vcc, 0, v3
	v_and_or_b32 v5, v9, s11, v5
	v_lshrrev_b32_e32 v16, 8, v4
	v_sub_u32_e32 v19, 0x3f1, v15
	v_cndmask_b32_e64 v3, 0, 1, vcc
	v_sub_u32_e32 v20, 0x3f1, v17
	v_med3_i32 v9, v18, 0, 13
	v_and_or_b32 v7, v14, s11, v7
	v_or_b32_e32 v18, 0x1000, v5
	v_add_u32_e32 v10, 0xfffffc10, v10
	v_med3_i32 v14, v19, 0, 13
	v_and_or_b32 v3, v16, s11, v3
	v_med3_i32 v16, v20, 0, 13
	v_cmp_ne_u32_e32 vcc, 0, v5
	v_or_b32_e32 v20, 0x1000, v7
	v_lshrrev_b32_e32 v24, v9, v18
	v_add_u32_e32 v15, 0xfffffc10, v15
	v_lshl_or_b32 v19, v10, 12, v5
	v_cndmask_b32_e64 v5, 0, 1, vcc
	v_cmp_ne_u32_e32 vcc, 0, v7
	v_or_b32_e32 v22, 0x1000, v3
	v_lshrrev_b32_e32 v25, v14, v20
	v_lshlrev_b32_e32 v9, v9, v24
	v_lshl_or_b32 v21, v15, 12, v7
	v_cndmask_b32_e64 v7, 0, 1, vcc
	v_lshrrev_b32_e32 v26, v16, v22
	v_lshlrev_b32_e32 v14, v14, v25
	v_cmp_ne_u32_e32 vcc, v9, v18
	v_lshlrev_b32_e32 v16, v16, v26
	v_cndmask_b32_e64 v9, 0, 1, vcc
	v_cmp_ne_u32_e32 vcc, v14, v20
	v_cndmask_b32_e64 v14, 0, 1, vcc
	v_cmp_ne_u32_e32 vcc, v16, v22
	v_cndmask_b32_e64 v16, 0, 1, vcc
	v_or_b32_e32 v9, v24, v9
	v_cmp_gt_i32_e32 vcc, 1, v10
	v_add_u32_e32 v17, 0xfffffc10, v17
	v_or_b32_e32 v14, v25, v14
	v_cndmask_b32_e32 v9, v19, v9, vcc
	v_cmp_gt_i32_e32 vcc, 1, v15
	v_lshl_or_b32 v23, v17, 12, v3
	v_or_b32_e32 v16, v26, v16
	v_cndmask_b32_e32 v14, v21, v14, vcc
	v_cmp_gt_i32_e32 vcc, 1, v17
	v_and_b32_e32 v18, 7, v9
	v_cndmask_b32_e32 v16, v23, v16, vcc
	v_cmp_lt_i32_e32 vcc, 5, v18
	v_cmp_eq_u32_e64 s[0:1], 3, v18
	v_lshrrev_b32_e32 v9, 2, v9
	v_and_b32_e32 v19, 7, v14
	s_or_b64 vcc, s[0:1], vcc
	v_cmp_lt_i32_e64 s[2:3], 5, v19
	v_cmp_eq_u32_e64 s[4:5], 3, v19
	v_addc_co_u32_e32 v9, vcc, 0, v9, vcc
	v_lshrrev_b32_e32 v14, 2, v14
	s_or_b64 vcc, s[4:5], s[2:3]
	v_addc_co_u32_e32 v14, vcc, 0, v14, vcc
	v_cmp_gt_i32_e32 vcc, 31, v10
	v_cndmask_b32_e32 v9, v2, v9, vcc
	v_cmp_gt_i32_e32 vcc, 31, v15
	v_lshl_or_b32 v5, v5, 9, v2
	v_cndmask_b32_e32 v14, v2, v14, vcc
	v_cmp_eq_u32_e32 vcc, s14, v10
	v_lshrrev_b32_e32 v6, 16, v6
	v_lshl_or_b32 v7, v7, 9, v2
	v_cndmask_b32_e32 v5, v9, v5, vcc
	v_cmp_eq_u32_e32 vcc, s14, v15
	v_lshrrev_b32_e32 v8, 16, v8
	v_cndmask_b32_e32 v7, v14, v7, vcc
	v_and_or_b32 v5, v6, s15, v5
	v_and_or_b32 v6, v8, s15, v7
	v_and_b32_e32 v5, 0xffff, v5
	v_lshl_or_b32 v5, v6, 16, v5
	global_store_dword v[0:1], v5, off
	v_fma_f16 v5, v11, v12, -v13
	v_cvt_f32_f16_e32 v5, v5
	v_and_b32_e32 v20, 7, v16
	v_cmp_lt_i32_e32 vcc, 5, v20
	v_cmp_eq_u32_e64 s[0:1], 3, v20
	v_cvt_f64_f32_e32 v[5:6], v5
	v_lshrrev_b32_e32 v7, 2, v16
	s_or_b64 vcc, s[0:1], vcc
	v_addc_co_u32_e32 v7, vcc, 0, v7, vcc
	v_mul_f64 v[5:6], v[5:6], s[12:13]
	v_cmp_gt_i32_e32 vcc, 31, v17
	v_cndmask_b32_e32 v7, v2, v7, vcc
	v_cmp_ne_u32_e32 vcc, 0, v3
	v_cndmask_b32_e64 v3, 0, 1, vcc
	v_lshl_or_b32 v3, v3, 9, v2
	v_cmp_eq_u32_e32 vcc, s14, v17
	v_cndmask_b32_e32 v3, v7, v3, vcc
	v_lshrrev_b32_e32 v4, 16, v4
	v_and_or_b32 v3, v4, s15, v3
	v_and_or_b32 v4, v6, s10, v5
	v_cmp_ne_u32_e32 vcc, 0, v4
	v_cndmask_b32_e64 v4, 0, 1, vcc
	v_lshrrev_b32_e32 v5, 8, v6
	v_bfe_u32 v7, v6, 20, 11
	v_and_or_b32 v4, v5, s11, v4
	v_sub_u32_e32 v8, 0x3f1, v7
	v_or_b32_e32 v5, 0x1000, v4
	v_med3_i32 v8, v8, 0, 13
	v_lshrrev_b32_e32 v9, v8, v5
	v_lshlrev_b32_e32 v8, v8, v9
	v_cmp_ne_u32_e32 vcc, v8, v5
	v_cndmask_b32_e64 v5, 0, 1, vcc
	v_add_u32_e32 v7, 0xfffffc10, v7
	v_or_b32_e32 v5, v9, v5
	v_lshl_or_b32 v8, v7, 12, v4
	v_cmp_gt_i32_e32 vcc, 1, v7
	v_cndmask_b32_e32 v5, v8, v5, vcc
	v_and_b32_e32 v8, 7, v5
	v_cmp_lt_i32_e32 vcc, 5, v8
	v_cmp_eq_u32_e64 s[0:1], 3, v8
	v_lshrrev_b32_e32 v5, 2, v5
	s_or_b64 vcc, s[0:1], vcc
	v_addc_co_u32_e32 v5, vcc, 0, v5, vcc
	v_cmp_gt_i32_e32 vcc, 31, v7
	v_cndmask_b32_e32 v5, v2, v5, vcc
	v_cmp_ne_u32_e32 vcc, 0, v4
	v_cndmask_b32_e64 v4, 0, 1, vcc
	v_lshl_or_b32 v2, v4, 9, v2
	v_cmp_eq_u32_e32 vcc, s14, v7
	v_cndmask_b32_e32 v2, v5, v2, vcc
	v_lshrrev_b32_e32 v4, 16, v6
	v_and_or_b32 v2, v4, s15, v2
	v_and_b32_e32 v3, 0xffff, v3
	v_lshl_or_b32 v2, v2, 16, v3
	v_mov_b32_e32 v3, s7
	v_add_co_u32_e32 v0, vcc, s6, v0
	v_addc_co_u32_e32 v1, vcc, v1, v3, vcc
	global_store_dword v[0:1], v2, off
.LBB0_15:
	s_endpgm
	.section	.rodata,"a",@progbits
	.p2align	6, 0x0
	.amdhsa_kernel bluestein_single_back_len98_dim1_half_op_CI_CI
		.amdhsa_group_segment_fixed_size 7056
		.amdhsa_private_segment_fixed_size 0
		.amdhsa_kernarg_size 104
		.amdhsa_user_sgpr_count 6
		.amdhsa_user_sgpr_private_segment_buffer 1
		.amdhsa_user_sgpr_dispatch_ptr 0
		.amdhsa_user_sgpr_queue_ptr 0
		.amdhsa_user_sgpr_kernarg_segment_ptr 1
		.amdhsa_user_sgpr_dispatch_id 0
		.amdhsa_user_sgpr_flat_scratch_init 0
		.amdhsa_user_sgpr_private_segment_size 0
		.amdhsa_uses_dynamic_stack 0
		.amdhsa_system_sgpr_private_segment_wavefront_offset 0
		.amdhsa_system_sgpr_workgroup_id_x 1
		.amdhsa_system_sgpr_workgroup_id_y 0
		.amdhsa_system_sgpr_workgroup_id_z 0
		.amdhsa_system_sgpr_workgroup_info 0
		.amdhsa_system_vgpr_workitem_id 0
		.amdhsa_next_free_vgpr 55
		.amdhsa_next_free_sgpr 18
		.amdhsa_reserve_vcc 1
		.amdhsa_reserve_flat_scratch 0
		.amdhsa_float_round_mode_32 0
		.amdhsa_float_round_mode_16_64 0
		.amdhsa_float_denorm_mode_32 3
		.amdhsa_float_denorm_mode_16_64 3
		.amdhsa_dx10_clamp 1
		.amdhsa_ieee_mode 1
		.amdhsa_fp16_overflow 0
		.amdhsa_exception_fp_ieee_invalid_op 0
		.amdhsa_exception_fp_denorm_src 0
		.amdhsa_exception_fp_ieee_div_zero 0
		.amdhsa_exception_fp_ieee_overflow 0
		.amdhsa_exception_fp_ieee_underflow 0
		.amdhsa_exception_fp_ieee_inexact 0
		.amdhsa_exception_int_div_zero 0
	.end_amdhsa_kernel
	.text
.Lfunc_end0:
	.size	bluestein_single_back_len98_dim1_half_op_CI_CI, .Lfunc_end0-bluestein_single_back_len98_dim1_half_op_CI_CI
                                        ; -- End function
	.section	.AMDGPU.csdata,"",@progbits
; Kernel info:
; codeLenInByte = 10024
; NumSgprs: 22
; NumVgprs: 55
; ScratchSize: 0
; MemoryBound: 0
; FloatMode: 240
; IeeeMode: 1
; LDSByteSize: 7056 bytes/workgroup (compile time only)
; SGPRBlocks: 2
; VGPRBlocks: 13
; NumSGPRsForWavesPerEU: 22
; NumVGPRsForWavesPerEU: 55
; Occupancy: 4
; WaveLimiterHint : 1
; COMPUTE_PGM_RSRC2:SCRATCH_EN: 0
; COMPUTE_PGM_RSRC2:USER_SGPR: 6
; COMPUTE_PGM_RSRC2:TRAP_HANDLER: 0
; COMPUTE_PGM_RSRC2:TGID_X_EN: 1
; COMPUTE_PGM_RSRC2:TGID_Y_EN: 0
; COMPUTE_PGM_RSRC2:TGID_Z_EN: 0
; COMPUTE_PGM_RSRC2:TIDIG_COMP_CNT: 0
	.type	__hip_cuid_8f77a2435411755,@object ; @__hip_cuid_8f77a2435411755
	.section	.bss,"aw",@nobits
	.globl	__hip_cuid_8f77a2435411755
__hip_cuid_8f77a2435411755:
	.byte	0                               ; 0x0
	.size	__hip_cuid_8f77a2435411755, 1

	.ident	"AMD clang version 19.0.0git (https://github.com/RadeonOpenCompute/llvm-project roc-6.4.0 25133 c7fe45cf4b819c5991fe208aaa96edf142730f1d)"
	.section	".note.GNU-stack","",@progbits
	.addrsig
	.addrsig_sym __hip_cuid_8f77a2435411755
	.amdgpu_metadata
---
amdhsa.kernels:
  - .args:
      - .actual_access:  read_only
        .address_space:  global
        .offset:         0
        .size:           8
        .value_kind:     global_buffer
      - .actual_access:  read_only
        .address_space:  global
        .offset:         8
        .size:           8
        .value_kind:     global_buffer
      - .actual_access:  read_only
        .address_space:  global
        .offset:         16
        .size:           8
        .value_kind:     global_buffer
      - .actual_access:  read_only
        .address_space:  global
        .offset:         24
        .size:           8
        .value_kind:     global_buffer
      - .actual_access:  read_only
        .address_space:  global
        .offset:         32
        .size:           8
        .value_kind:     global_buffer
      - .offset:         40
        .size:           8
        .value_kind:     by_value
      - .address_space:  global
        .offset:         48
        .size:           8
        .value_kind:     global_buffer
      - .address_space:  global
        .offset:         56
        .size:           8
        .value_kind:     global_buffer
      - .address_space:  global
        .offset:         64
        .size:           8
        .value_kind:     global_buffer
      - .address_space:  global
        .offset:         72
        .size:           8
        .value_kind:     global_buffer
      - .offset:         80
        .size:           4
        .value_kind:     by_value
      - .address_space:  global
        .offset:         88
        .size:           8
        .value_kind:     global_buffer
      - .address_space:  global
        .offset:         96
        .size:           8
        .value_kind:     global_buffer
    .group_segment_fixed_size: 7056
    .kernarg_segment_align: 8
    .kernarg_segment_size: 104
    .language:       OpenCL C
    .language_version:
      - 2
      - 0
    .max_flat_workgroup_size: 252
    .name:           bluestein_single_back_len98_dim1_half_op_CI_CI
    .private_segment_fixed_size: 0
    .sgpr_count:     22
    .sgpr_spill_count: 0
    .symbol:         bluestein_single_back_len98_dim1_half_op_CI_CI.kd
    .uniform_work_group_size: 1
    .uses_dynamic_stack: false
    .vgpr_count:     55
    .vgpr_spill_count: 0
    .wavefront_size: 64
amdhsa.target:   amdgcn-amd-amdhsa--gfx906
amdhsa.version:
  - 1
  - 2
...

	.end_amdgpu_metadata
